;; amdgpu-corpus repo=ROCm/rocFFT kind=compiled arch=gfx950 opt=O3
	.text
	.amdgcn_target "amdgcn-amd-amdhsa--gfx950"
	.amdhsa_code_object_version 6
	.protected	fft_rtc_fwd_len1365_factors_13_7_5_3_wgs_182_tpt_91_halfLds_sp_op_CI_CI_sbrr_dirReg ; -- Begin function fft_rtc_fwd_len1365_factors_13_7_5_3_wgs_182_tpt_91_halfLds_sp_op_CI_CI_sbrr_dirReg
	.globl	fft_rtc_fwd_len1365_factors_13_7_5_3_wgs_182_tpt_91_halfLds_sp_op_CI_CI_sbrr_dirReg
	.p2align	8
	.type	fft_rtc_fwd_len1365_factors_13_7_5_3_wgs_182_tpt_91_halfLds_sp_op_CI_CI_sbrr_dirReg,@function
fft_rtc_fwd_len1365_factors_13_7_5_3_wgs_182_tpt_91_halfLds_sp_op_CI_CI_sbrr_dirReg: ; @fft_rtc_fwd_len1365_factors_13_7_5_3_wgs_182_tpt_91_halfLds_sp_op_CI_CI_sbrr_dirReg
; %bb.0:
	s_load_dwordx4 s[12:15], s[0:1], 0x18
	s_load_dwordx4 s[4:7], s[0:1], 0x0
	;; [unrolled: 1-line block ×3, first 2 shown]
	v_mul_u32_u24_e32 v1, 0x2d1, v0
	v_lshrrev_b32_e32 v68, 16, v1
	s_waitcnt lgkmcnt(0)
	s_load_dwordx2 s[18:19], s[12:13], 0x0
	s_load_dwordx2 s[16:17], s[14:15], 0x0
	v_lshl_add_u32 v8, s2, 1, v68
	v_mov_b32_e32 v6, 0
	v_cmp_lt_u64_e64 s[2:3], s[6:7], 2
	v_mov_b32_e32 v9, v6
	s_and_b64 vcc, exec, s[2:3]
	v_mov_b64_e32 v[36:37], 0
	s_cbranch_vccnz .LBB0_8
; %bb.1:
	s_load_dwordx2 s[2:3], s[0:1], 0x10
	s_add_u32 s20, s14, 8
	s_addc_u32 s21, s15, 0
	s_add_u32 s22, s12, 8
	s_addc_u32 s23, s13, 0
	s_waitcnt lgkmcnt(0)
	s_add_u32 s24, s2, 8
	v_mov_b64_e32 v[36:37], 0
	s_addc_u32 s25, s3, 0
	s_mov_b64 s[26:27], 1
	v_mov_b64_e32 v[2:3], v[36:37]
.LBB0_2:                                ; =>This Inner Loop Header: Depth=1
	s_load_dwordx2 s[28:29], s[24:25], 0x0
                                        ; implicit-def: $vgpr4_vgpr5
	s_waitcnt lgkmcnt(0)
	v_or_b32_e32 v7, s29, v9
	v_cmp_ne_u64_e32 vcc, 0, v[6:7]
	s_and_saveexec_b64 s[2:3], vcc
	s_xor_b64 s[30:31], exec, s[2:3]
	s_cbranch_execz .LBB0_4
; %bb.3:                                ;   in Loop: Header=BB0_2 Depth=1
	v_cvt_f32_u32_e32 v1, s28
	v_cvt_f32_u32_e32 v4, s29
	s_sub_u32 s2, 0, s28
	s_subb_u32 s3, 0, s29
	v_fmac_f32_e32 v1, 0x4f800000, v4
	v_rcp_f32_e32 v1, v1
	s_nop 0
	v_mul_f32_e32 v1, 0x5f7ffffc, v1
	v_mul_f32_e32 v4, 0x2f800000, v1
	v_trunc_f32_e32 v4, v4
	v_fmac_f32_e32 v1, 0xcf800000, v4
	v_cvt_u32_f32_e32 v7, v4
	v_cvt_u32_f32_e32 v1, v1
	v_mul_lo_u32 v4, s2, v7
	v_mul_hi_u32 v10, s2, v1
	v_mul_lo_u32 v5, s3, v1
	v_add_u32_e32 v10, v10, v4
	v_mul_lo_u32 v12, s2, v1
	v_add_u32_e32 v13, v10, v5
	v_mul_hi_u32 v4, v1, v12
	v_mul_hi_u32 v11, v1, v13
	v_mul_lo_u32 v10, v1, v13
	v_mov_b32_e32 v5, v6
	v_lshl_add_u64 v[4:5], v[4:5], 0, v[10:11]
	v_mul_hi_u32 v11, v7, v12
	v_mul_lo_u32 v12, v7, v12
	v_add_co_u32_e32 v4, vcc, v4, v12
	v_mul_hi_u32 v10, v7, v13
	s_nop 0
	v_addc_co_u32_e32 v4, vcc, v5, v11, vcc
	v_mov_b32_e32 v5, v6
	s_nop 0
	v_addc_co_u32_e32 v11, vcc, 0, v10, vcc
	v_mul_lo_u32 v10, v7, v13
	v_lshl_add_u64 v[4:5], v[4:5], 0, v[10:11]
	v_add_co_u32_e32 v1, vcc, v1, v4
	v_mul_lo_u32 v10, s2, v1
	s_nop 0
	v_addc_co_u32_e32 v7, vcc, v7, v5, vcc
	v_mul_lo_u32 v4, s2, v7
	v_mul_hi_u32 v5, s2, v1
	v_add_u32_e32 v4, v5, v4
	v_mul_lo_u32 v5, s3, v1
	v_add_u32_e32 v12, v4, v5
	v_mul_hi_u32 v14, v7, v10
	v_mul_lo_u32 v15, v7, v10
	v_mul_hi_u32 v5, v1, v12
	v_mul_lo_u32 v4, v1, v12
	v_mul_hi_u32 v10, v1, v10
	v_mov_b32_e32 v11, v6
	v_lshl_add_u64 v[4:5], v[10:11], 0, v[4:5]
	v_add_co_u32_e32 v4, vcc, v4, v15
	v_mul_hi_u32 v13, v7, v12
	s_nop 0
	v_addc_co_u32_e32 v4, vcc, v5, v14, vcc
	v_mul_lo_u32 v10, v7, v12
	s_nop 0
	v_addc_co_u32_e32 v11, vcc, 0, v13, vcc
	v_mov_b32_e32 v5, v6
	v_lshl_add_u64 v[4:5], v[4:5], 0, v[10:11]
	v_add_co_u32_e32 v1, vcc, v1, v4
	v_mul_hi_u32 v10, v8, v1
	s_nop 0
	v_addc_co_u32_e32 v7, vcc, v7, v5, vcc
	v_mad_u64_u32 v[4:5], s[2:3], v8, v7, 0
	v_mov_b32_e32 v11, v6
	v_lshl_add_u64 v[4:5], v[10:11], 0, v[4:5]
	v_mad_u64_u32 v[12:13], s[2:3], v9, v1, 0
	v_add_co_u32_e32 v1, vcc, v4, v12
	v_mad_u64_u32 v[10:11], s[2:3], v9, v7, 0
	s_nop 0
	v_addc_co_u32_e32 v4, vcc, v5, v13, vcc
	v_mov_b32_e32 v5, v6
	s_nop 0
	v_addc_co_u32_e32 v11, vcc, 0, v11, vcc
	v_lshl_add_u64 v[4:5], v[4:5], 0, v[10:11]
	v_mul_lo_u32 v1, s29, v4
	v_mul_lo_u32 v7, s28, v5
	v_mad_u64_u32 v[10:11], s[2:3], s28, v4, 0
	v_add3_u32 v1, v11, v7, v1
	v_sub_u32_e32 v7, v9, v1
	v_mov_b32_e32 v11, s29
	v_sub_co_u32_e32 v14, vcc, v8, v10
	v_lshl_add_u64 v[12:13], v[4:5], 0, 1
	s_nop 0
	v_subb_co_u32_e64 v7, s[2:3], v7, v11, vcc
	v_subrev_co_u32_e64 v10, s[2:3], s28, v14
	v_subb_co_u32_e32 v1, vcc, v9, v1, vcc
	s_nop 0
	v_subbrev_co_u32_e64 v7, s[2:3], 0, v7, s[2:3]
	v_cmp_le_u32_e64 s[2:3], s29, v7
	v_cmp_le_u32_e32 vcc, s29, v1
	s_nop 0
	v_cndmask_b32_e64 v11, 0, -1, s[2:3]
	v_cmp_le_u32_e64 s[2:3], s28, v10
	s_nop 1
	v_cndmask_b32_e64 v10, 0, -1, s[2:3]
	v_cmp_eq_u32_e64 s[2:3], s29, v7
	s_nop 1
	v_cndmask_b32_e64 v7, v11, v10, s[2:3]
	v_lshl_add_u64 v[10:11], v[4:5], 0, 2
	v_cmp_ne_u32_e64 s[2:3], 0, v7
	s_nop 1
	v_cndmask_b32_e64 v7, v13, v11, s[2:3]
	v_cndmask_b32_e64 v11, 0, -1, vcc
	v_cmp_le_u32_e32 vcc, s28, v14
	s_nop 1
	v_cndmask_b32_e64 v13, 0, -1, vcc
	v_cmp_eq_u32_e32 vcc, s29, v1
	s_nop 1
	v_cndmask_b32_e32 v1, v11, v13, vcc
	v_cmp_ne_u32_e32 vcc, 0, v1
	v_cndmask_b32_e64 v1, v12, v10, s[2:3]
	s_nop 0
	v_cndmask_b32_e32 v5, v5, v7, vcc
	v_cndmask_b32_e32 v4, v4, v1, vcc
.LBB0_4:                                ;   in Loop: Header=BB0_2 Depth=1
	s_andn2_saveexec_b64 s[2:3], s[30:31]
	s_cbranch_execz .LBB0_6
; %bb.5:                                ;   in Loop: Header=BB0_2 Depth=1
	v_cvt_f32_u32_e32 v1, s28
	s_sub_i32 s30, 0, s28
	v_rcp_iflag_f32_e32 v1, v1
	s_nop 0
	v_mul_f32_e32 v1, 0x4f7ffffe, v1
	v_cvt_u32_f32_e32 v1, v1
	v_mul_lo_u32 v4, s30, v1
	v_mul_hi_u32 v4, v1, v4
	v_add_u32_e32 v1, v1, v4
	v_mul_hi_u32 v1, v8, v1
	v_mul_lo_u32 v4, v1, s28
	v_sub_u32_e32 v4, v8, v4
	v_add_u32_e32 v5, 1, v1
	v_subrev_u32_e32 v7, s28, v4
	v_cmp_le_u32_e32 vcc, s28, v4
	s_nop 1
	v_cndmask_b32_e32 v4, v4, v7, vcc
	v_cndmask_b32_e32 v1, v1, v5, vcc
	v_add_u32_e32 v5, 1, v1
	v_cmp_le_u32_e32 vcc, s28, v4
	s_nop 1
	v_cndmask_b32_e32 v4, v1, v5, vcc
	v_mov_b32_e32 v5, v6
.LBB0_6:                                ;   in Loop: Header=BB0_2 Depth=1
	s_or_b64 exec, exec, s[2:3]
	v_mad_u64_u32 v[10:11], s[2:3], v4, s28, 0
	s_load_dwordx2 s[2:3], s[22:23], 0x0
	v_mul_lo_u32 v1, v5, s28
	v_mul_lo_u32 v7, v4, s29
	s_load_dwordx2 s[28:29], s[20:21], 0x0
	s_add_u32 s26, s26, 1
	v_add3_u32 v1, v11, v7, v1
	v_sub_co_u32_e32 v7, vcc, v8, v10
	s_addc_u32 s27, s27, 0
	s_nop 0
	v_subb_co_u32_e32 v1, vcc, v9, v1, vcc
	s_add_u32 s20, s20, 8
	s_waitcnt lgkmcnt(0)
	v_mul_lo_u32 v8, s2, v1
	v_mul_lo_u32 v9, s3, v7
	v_mad_u64_u32 v[36:37], s[2:3], s2, v7, v[36:37]
	s_addc_u32 s21, s21, 0
	v_add3_u32 v37, v9, v37, v8
	v_mul_lo_u32 v1, s28, v1
	v_mul_lo_u32 v8, s29, v7
	v_mad_u64_u32 v[2:3], s[2:3], s28, v7, v[2:3]
	s_add_u32 s22, s22, 8
	v_add3_u32 v3, v8, v3, v1
	s_addc_u32 s23, s23, 0
	v_mov_b64_e32 v[8:9], s[6:7]
	s_add_u32 s24, s24, 8
	v_cmp_ge_u64_e32 vcc, s[26:27], v[8:9]
	s_addc_u32 s25, s25, 0
	s_cbranch_vccnz .LBB0_9
; %bb.7:                                ;   in Loop: Header=BB0_2 Depth=1
	v_mov_b64_e32 v[8:9], v[4:5]
	s_branch .LBB0_2
.LBB0_8:
	v_mov_b64_e32 v[2:3], v[36:37]
	v_mov_b64_e32 v[4:5], v[8:9]
.LBB0_9:
	s_load_dwordx2 s[0:1], s[0:1], 0x28
	s_lshl_b64 s[20:21], s[6:7], 3
	s_add_u32 s6, s14, s20
	s_addc_u32 s7, s15, s21
                                        ; implicit-def: $sgpr14
                                        ; implicit-def: $vgpr97
	s_waitcnt lgkmcnt(0)
	v_cmp_gt_u64_e32 vcc, s[0:1], v[4:5]
	v_cmp_le_u64_e64 s[0:1], s[0:1], v[4:5]
	s_and_saveexec_b64 s[2:3], s[0:1]
	s_xor_b64 s[0:1], exec, s[2:3]
; %bb.10:
	s_mov_b32 s2, 0x2d02d03
	v_mul_hi_u32 v1, v0, s2
	v_mul_u32_u24_e32 v1, 0x5b, v1
	v_sub_u32_e32 v97, v0, v1
	s_mov_b32 s14, 0
                                        ; implicit-def: $vgpr0
                                        ; implicit-def: $vgpr36_vgpr37
; %bb.11:
	s_or_saveexec_b64 s[2:3], s[0:1]
	s_load_dwordx2 s[6:7], s[6:7], 0x0
	v_mov_b32_e32 v6, s14
	v_mov_b32_e32 v7, s14
                                        ; implicit-def: $vgpr30
                                        ; implicit-def: $vgpr28
                                        ; implicit-def: $vgpr8
                                        ; implicit-def: $vgpr32
                                        ; implicit-def: $vgpr14
                                        ; implicit-def: $vgpr24
                                        ; implicit-def: $vgpr46
                                        ; implicit-def: $vgpr42
                                        ; implicit-def: $vgpr34
                                        ; implicit-def: $vgpr54
                                        ; implicit-def: $vgpr52
                                        ; implicit-def: $vgpr50
                                        ; implicit-def: $vgpr66
                                        ; implicit-def: $vgpr62
                                        ; implicit-def: $vgpr60
                                        ; implicit-def: $vgpr58
                                        ; implicit-def: $vgpr56
                                        ; implicit-def: $vgpr48
                                        ; implicit-def: $vgpr12
                                        ; implicit-def: $vgpr22
                                        ; implicit-def: $vgpr18
                                        ; implicit-def: $vgpr10
                                        ; implicit-def: $vgpr20
                                        ; implicit-def: $vgpr26
                                        ; implicit-def: $vgpr16
	s_xor_b64 exec, exec, s[2:3]
	s_cbranch_execz .LBB0_15
; %bb.12:
	s_add_u32 s0, s12, s20
	s_addc_u32 s1, s13, s21
	s_load_dwordx2 s[0:1], s[0:1], 0x0
	s_mov_b32 s12, 0x2d02d03
                                        ; implicit-def: $vgpr49
                                        ; implicit-def: $vgpr57
                                        ; implicit-def: $vgpr59
                                        ; implicit-def: $vgpr61
                                        ; implicit-def: $vgpr63
                                        ; implicit-def: $vgpr67
                                        ; implicit-def: $vgpr51
                                        ; implicit-def: $vgpr53
                                        ; implicit-def: $vgpr55
                                        ; implicit-def: $vgpr43
                                        ; implicit-def: $vgpr47
	s_waitcnt lgkmcnt(0)
	v_mul_lo_u32 v1, s1, v4
	v_mul_lo_u32 v8, s0, v5
	v_mad_u64_u32 v[6:7], s[0:1], s0, v4, 0
	v_add3_u32 v7, v7, v8, v1
	v_mul_hi_u32 v1, v0, s12
	v_mul_u32_u24_e32 v1, 0x5b, v1
	v_sub_u32_e32 v97, v0, v1
	v_mad_u64_u32 v[0:1], s[0:1], s18, v97, 0
	v_mov_b32_e32 v8, v1
	v_mad_u64_u32 v[8:9], s[0:1], s19, v97, v[8:9]
	v_lshl_add_u64 v[6:7], v[6:7], 3, s[8:9]
	v_mov_b32_e32 v1, v8
	v_lshl_add_u64 v[28:29], v[36:37], 3, v[6:7]
	v_add_u32_e32 v9, 0x69, v97
	v_lshl_add_u64 v[6:7], v[0:1], 3, v[28:29]
	v_mad_u64_u32 v[0:1], s[0:1], s18, v9, 0
	v_mov_b32_e32 v8, v1
	v_mad_u64_u32 v[8:9], s[0:1], s19, v9, v[8:9]
	v_mov_b32_e32 v1, v8
	v_add_u32_e32 v11, 0xd2, v97
	v_lshl_add_u64 v[8:9], v[0:1], 3, v[28:29]
	v_mad_u64_u32 v[0:1], s[0:1], s18, v11, 0
	v_mov_b32_e32 v10, v1
	v_mad_u64_u32 v[10:11], s[0:1], s19, v11, v[10:11]
	v_mov_b32_e32 v1, v10
	;; [unrolled: 6-line block ×3, first 2 shown]
	v_lshl_add_u64 v[14:15], v[0:1], 3, v[28:29]
	global_load_dwordx2 v[0:1], v[6:7], off
	global_load_dwordx2 v[36:37], v[8:9], off
	;; [unrolled: 1-line block ×4, first 2 shown]
	v_add_u32_e32 v9, 0x1a4, v97
	v_mad_u64_u32 v[6:7], s[0:1], s18, v9, 0
	v_mov_b32_e32 v8, v7
	v_mad_u64_u32 v[8:9], s[0:1], s19, v9, v[8:9]
	v_add_u32_e32 v11, 0x20d, v97
	v_mov_b32_e32 v7, v8
	v_mad_u64_u32 v[8:9], s[0:1], s18, v11, 0
	v_mov_b32_e32 v10, v9
	v_mad_u64_u32 v[10:11], s[0:1], s19, v11, v[10:11]
	v_mov_b32_e32 v9, v10
	v_add_u32_e32 v11, 0x276, v97
	v_lshl_add_u64 v[14:15], v[8:9], 3, v[28:29]
	v_mad_u64_u32 v[8:9], s[0:1], s18, v11, 0
	v_mov_b32_e32 v10, v9
	v_mad_u64_u32 v[10:11], s[0:1], s19, v11, v[10:11]
	v_mov_b32_e32 v9, v10
	v_add_u32_e32 v11, 0x2df, v97
	v_lshl_add_u64 v[16:17], v[8:9], 3, v[28:29]
	v_mad_u64_u32 v[8:9], s[0:1], s18, v11, 0
	v_mov_b32_e32 v10, v9
	v_mad_u64_u32 v[10:11], s[0:1], s19, v11, v[10:11]
	v_lshl_add_u64 v[6:7], v[6:7], 3, v[28:29]
	v_mov_b32_e32 v9, v10
	v_lshl_add_u64 v[20:21], v[8:9], 3, v[28:29]
	global_load_dwordx2 v[8:9], v[6:7], off
	global_load_dwordx2 v[18:19], v[14:15], off
	;; [unrolled: 1-line block ×4, first 2 shown]
	v_add_u32_e32 v15, 0x348, v97
	v_mad_u64_u32 v[6:7], s[0:1], s18, v15, 0
	v_mov_b32_e32 v14, v7
	v_mad_u64_u32 v[14:15], s[0:1], s19, v15, v[14:15]
	v_add_u32_e32 v17, 0x3b1, v97
	v_mov_b32_e32 v7, v14
	v_mad_u64_u32 v[14:15], s[0:1], s18, v17, 0
	v_mov_b32_e32 v16, v15
	v_mad_u64_u32 v[16:17], s[0:1], s19, v17, v[16:17]
	v_add_u32_e32 v21, 0x41a, v97
	v_mov_b32_e32 v15, v16
	v_mad_u64_u32 v[16:17], s[0:1], s18, v21, 0
	v_mov_b32_e32 v20, v17
	v_mad_u64_u32 v[20:21], s[0:1], s19, v21, v[20:21]
	v_mov_b32_e32 v17, v20
	v_add_u32_e32 v21, 0x483, v97
	v_lshl_add_u64 v[30:31], v[16:17], 3, v[28:29]
	v_mad_u64_u32 v[16:17], s[0:1], s18, v21, 0
	v_mov_b32_e32 v20, v17
	v_mad_u64_u32 v[20:21], s[0:1], s19, v21, v[20:21]
	v_lshl_add_u64 v[6:7], v[6:7], 3, v[28:29]
	v_lshl_add_u64 v[14:15], v[14:15], 3, v[28:29]
	v_mov_b32_e32 v17, v20
	v_lshl_add_u64 v[34:35], v[16:17], 3, v[28:29]
	global_load_dwordx2 v[20:21], v[6:7], off
	global_load_dwordx2 v[26:27], v[14:15], off
	;; [unrolled: 1-line block ×4, first 2 shown]
	v_add_u32_e32 v15, 0x4ec, v97
	v_mad_u64_u32 v[6:7], s[0:1], s18, v15, 0
	v_mov_b32_e32 v14, v7
	v_mad_u64_u32 v[14:15], s[0:1], s19, v15, v[14:15]
	v_mov_b32_e32 v7, v14
	v_lshl_add_u64 v[6:7], v[6:7], 3, v[28:29]
	global_load_dwordx2 v[14:15], v[6:7], off
	v_cmp_gt_u32_e64 s[0:1], 14, v97
	v_mov_b32_e32 v7, 0
	v_mov_b32_e32 v6, 0
                                        ; implicit-def: $vgpr35
	s_and_saveexec_b64 s[8:9], s[0:1]
	s_cbranch_execz .LBB0_14
; %bb.13:
	v_add_u32_e32 v31, 0x5b, v97
	v_mad_u64_u32 v[6:7], s[0:1], s18, v31, 0
	v_mov_b32_e32 v30, v7
	v_mad_u64_u32 v[30:31], s[0:1], s19, v31, v[30:31]
	v_mov_b32_e32 v7, v30
	v_add_u32_e32 v35, 0xc4, v97
	v_lshl_add_u64 v[30:31], v[6:7], 3, v[28:29]
	v_mad_u64_u32 v[6:7], s[0:1], s18, v35, 0
	v_mov_b32_e32 v34, v7
	v_mad_u64_u32 v[34:35], s[0:1], s19, v35, v[34:35]
	v_mov_b32_e32 v7, v34
	v_add_u32_e32 v35, 0x12d, v97
	v_lshl_add_u64 v[38:39], v[6:7], 3, v[28:29]
	;; [unrolled: 6-line block ×3, first 2 shown]
	v_mad_u64_u32 v[6:7], s[0:1], s18, v35, 0
	v_mov_b32_e32 v34, v7
	v_mad_u64_u32 v[34:35], s[0:1], s19, v35, v[34:35]
	v_mov_b32_e32 v7, v34
	v_lshl_add_u64 v[44:45], v[6:7], 3, v[28:29]
	global_load_dwordx2 v[6:7], v[30:31], off
	global_load_dwordx2 v[46:47], v[38:39], off
	;; [unrolled: 1-line block ×4, first 2 shown]
	v_add_u32_e32 v39, 0x1ff, v97
	v_mad_u64_u32 v[30:31], s[0:1], s18, v39, 0
	v_mov_b32_e32 v38, v31
	v_mad_u64_u32 v[38:39], s[0:1], s19, v39, v[38:39]
	v_add_u32_e32 v41, 0x268, v97
	v_mov_b32_e32 v31, v38
	v_mad_u64_u32 v[38:39], s[0:1], s18, v41, 0
	v_mov_b32_e32 v40, v39
	v_mad_u64_u32 v[40:41], s[0:1], s19, v41, v[40:41]
	v_add_u32_e32 v45, 0x2d1, v97
	v_mov_b32_e32 v39, v40
	;; [unrolled: 5-line block ×3, first 2 shown]
	v_mad_u64_u32 v[44:45], s[0:1], s18, v49, 0
	v_mov_b32_e32 v48, v45
	v_mad_u64_u32 v[48:49], s[0:1], s19, v49, v[48:49]
	v_lshl_add_u64 v[30:31], v[30:31], 3, v[28:29]
	v_lshl_add_u64 v[38:39], v[38:39], 3, v[28:29]
	v_mov_b32_e32 v45, v48
	v_lshl_add_u64 v[40:41], v[40:41], 3, v[28:29]
	v_lshl_add_u64 v[44:45], v[44:45], 3, v[28:29]
	global_load_dwordx2 v[54:55], v[30:31], off
	global_load_dwordx2 v[52:53], v[38:39], off
	;; [unrolled: 1-line block ×4, first 2 shown]
	v_add_u32_e32 v39, 0x3a3, v97
	v_mad_u64_u32 v[30:31], s[0:1], s18, v39, 0
	v_mov_b32_e32 v38, v31
	v_mad_u64_u32 v[38:39], s[0:1], s19, v39, v[38:39]
	v_add_u32_e32 v41, 0x40c, v97
	v_mov_b32_e32 v31, v38
	v_mad_u64_u32 v[38:39], s[0:1], s18, v41, 0
	v_mov_b32_e32 v40, v39
	v_mad_u64_u32 v[40:41], s[0:1], s19, v41, v[40:41]
	v_add_u32_e32 v45, 0x475, v97
	v_mov_b32_e32 v39, v40
	;; [unrolled: 5-line block ×3, first 2 shown]
	v_mad_u64_u32 v[44:45], s[0:1], s18, v57, 0
	v_mov_b32_e32 v56, v45
	v_mad_u64_u32 v[56:57], s[0:1], s19, v57, v[56:57]
	v_lshl_add_u64 v[30:31], v[30:31], 3, v[28:29]
	v_lshl_add_u64 v[38:39], v[38:39], 3, v[28:29]
	v_mov_b32_e32 v45, v56
	v_lshl_add_u64 v[40:41], v[40:41], 3, v[28:29]
	v_lshl_add_u64 v[44:45], v[44:45], 3, v[28:29]
	global_load_dwordx2 v[56:57], v[30:31], off
	global_load_dwordx2 v[58:59], v[38:39], off
	;; [unrolled: 1-line block ×4, first 2 shown]
	v_add_u32_e32 v39, 0x547, v97
	v_mad_u64_u32 v[30:31], s[0:1], s18, v39, 0
	v_mov_b32_e32 v38, v31
	v_mad_u64_u32 v[38:39], s[0:1], s19, v39, v[38:39]
	v_mov_b32_e32 v31, v38
	v_lshl_add_u64 v[28:29], v[30:31], 3, v[28:29]
	global_load_dwordx2 v[66:67], v[28:29], off
.LBB0_14:
	s_or_b64 exec, exec, s[8:9]
	s_waitcnt vmcnt(8)
	v_mov_b32_e32 v30, v9
	v_mov_b32_e32 v31, v37
	s_waitcnt vmcnt(5)
	v_mov_b32_e32 v28, v33
	v_mov_b32_e32 v29, v1
	;; [unrolled: 1-line block ×4, first 2 shown]
.LBB0_15:
	s_or_b64 exec, exec, s[2:3]
	s_waitcnt vmcnt(2)
	v_pk_add_f32 v[82:83], v[24:25], v[22:23]
	v_pk_add_f32 v[84:85], v[22:23], v[24:25] neg_lo:[0,1] neg_hi:[0,1]
	s_mov_b32 s12, 0xbf7e222b
	v_mov_b32_e32 v0, v82
	v_mov_b32_e32 v1, v85
	s_mov_b32 s14, 0x3df6dbef
	s_mov_b32 s15, s12
	v_pk_mul_f32 v[80:81], v[0:1], s[14:15]
	s_mov_b32 s21, 0xbf3f9e67
	v_mov_b32_e32 v37, v80
	v_pk_add_f32 v[38:39], v[18:19], v[20:21]
	v_pk_add_f32 v[40:41], v[18:19], v[20:21] neg_lo:[0,1] neg_hi:[0,1]
	v_pk_fma_f32 v[90:91], v[0:1], s[14:15], v[36:37] neg_lo:[1,0,0] neg_hi:[1,0,0]
	s_mov_b32 s9, 0xbf29c268
	v_mov_b32_e32 v0, v38
	v_mov_b32_e32 v1, v41
	s_mov_b32 s8, s21
	v_pk_mul_f32 v[86:87], v[0:1], s[8:9]
	s_mov_b32 s25, 0xbeb58ec6
	v_mov_b32_e32 v37, v86
	v_pk_fma_f32 v[92:93], v[0:1], s[8:9], v[36:37] neg_lo:[1,0,0] neg_hi:[1,0,0]
	v_pk_add_f32 v[0:1], v[32:33], v[8:9]
	s_mov_b32 s19, 0xbf6f5d39
	v_mov_b32_e32 v0, v1
	v_pk_add_f32 v[0:1], v[0:1], v[12:13]
	s_mov_b32 s23, 0x3f7e222b
	v_pk_add_f32 v[0:1], v[0:1], v[22:23]
	s_mov_b32 s20, s25
	s_waitcnt vmcnt(0)
	v_mov_b32_e32 v1, v14
	s_mov_b32 s22, s9
	v_pk_add_f32 v[36:37], v[52:53], v[56:57] neg_lo:[0,1] neg_hi:[0,1]
	v_pk_add_f32 v[94:95], v[0:1], v[8:9]
	s_mov_b32 s27, 0x3f29c268
	s_mov_b32 s28, s21
	;; [unrolled: 1-line block ×3, first 2 shown]
	v_pk_mul_f32 v[88:89], v[36:37], s[22:23] op_sel:[1,0]
	s_mov_b32 s22, s19
	s_mov_b32 s2, s19
	;; [unrolled: 1-line block ×3, first 2 shown]
	v_pk_add_f32 v[44:45], v[50:51], v[48:49] neg_lo:[0,1] neg_hi:[0,1]
	v_pk_add_f32 v[98:99], v[30:31], v[14:15] neg_lo:[0,1] neg_hi:[0,1]
	v_pk_mul_f32 v[102:103], v[94:95], s[20:21] op_sel:[1,0]
	v_pk_add_f32 v[74:75], v[12:13], v[16:17]
	v_pk_mul_f32 v[104:105], v[44:45], s[22:23] op_sel:[1,0]
	s_mov_b32 s22, s27
	v_mov_b32_e32 v96, v33
	v_pk_fma_f32 v[0:1], v[98:99], s[2:3], v[102:103] op_sel:[1,0,0]
	v_pk_add_f32 v[108:109], v[12:13], v[16:17] neg_lo:[0,1] neg_hi:[0,1]
	v_pk_mul_f32 v[114:115], v[74:75], s[28:29] op_sel_hi:[0,1]
	s_mov_b32 s35, 0xbf52af12
	s_mov_b32 s39, 0x3f116cb1
	;; [unrolled: 1-line block ×4, first 2 shown]
	v_pk_add_f32 v[0:1], v[0:1], v[96:97] op_sel_hi:[1,0]
	v_pk_fma_f32 v[64:65], v[108:109], s[22:23], v[114:115] op_sel:[1,0,0]
	s_mov_b32 s56, s31
	s_mov_b32 s57, s35
	v_pk_mul_f32 v[116:117], v[82:83], s[38:39] op_sel_hi:[0,1]
	v_pk_add_f32 v[0:1], v[64:65], v[0:1]
	v_pk_fma_f32 v[64:65], v[84:85], s[56:57], v[116:117] op_sel:[1,0,0]
	s_mov_b32 s37, 0xbe750f2a
	v_pk_add_f32 v[0:1], v[0:1], v[64:65]
	v_mov_b32_e32 v64, v8
	v_mov_b32_e32 v65, v30
	v_pk_add_f32 v[110:111], v[64:65], v[26:27]
	v_pk_add_f32 v[112:113], v[64:65], v[26:27] neg_lo:[0,1] neg_hi:[0,1]
	s_mov_b32 s15, 0xbf788fa5
	s_mov_b32 s13, s37
	;; [unrolled: 1-line block ×3, first 2 shown]
	v_pk_add_f32 v[64:65], v[34:35], v[60:61] neg_lo:[0,1] neg_hi:[0,1]
	v_pk_mul_f32 v[122:123], v[110:111], s[14:15] op_sel_hi:[0,1]
	v_pk_mul_f32 v[100:101], v[64:65], s[12:13] op_sel:[1,0]
	s_mov_b32 s13, s8
	s_mov_b32 s50, s15
	;; [unrolled: 1-line block ×3, first 2 shown]
	v_pk_fma_f32 v[70:71], v[112:113], s[12:13], v[122:123] op_sel:[1,0,0]
	s_mov_b32 s58, s8
	s_mov_b32 s59, s31
	v_pk_mul_f32 v[124:125], v[38:39], s[50:51] op_sel_hi:[0,1]
	v_pk_add_f32 v[0:1], v[70:71], v[0:1]
	v_pk_fma_f32 v[70:71], v[40:41], s[58:59], v[124:125] op_sel:[1,0,0]
	s_mov_b32 s40, 0x3f52af12
	v_pk_add_f32 v[0:1], v[70:71], v[0:1]
	v_mov_b32_e32 v70, v32
	v_mov_b32_e32 v71, v28
	v_pk_add_f32 v[76:77], v[10:11], v[70:71]
	s_mov_b32 s24, s39
	s_mov_b32 s41, s37
	v_and_b32_e32 v68, 1, v68
	v_pk_add_f32 v[78:79], v[10:11], v[70:71] neg_lo:[0,1] neg_hi:[0,1]
	v_pk_mul_f32 v[130:131], v[36:37], s[40:41] op_sel:[1,0]
	s_mov_b32 s41, s19
	v_pk_mul_f32 v[132:133], v[76:77], s[24:25] op_sel_hi:[0,1]
	v_mov_b32_e32 v69, 0x555
	v_cmp_eq_u32_e64 s[0:1], 1, v68
	v_pk_fma_f32 v[70:71], v[78:79], s[40:41], v[132:133] op_sel:[1,0,0]
	v_mad_u32_u24 v127, v97, 52, 0
	v_cndmask_b32_e64 v128, 0, v69, s[0:1]
	v_pk_add_f32 v[0:1], v[70:71], v[0:1]
	v_lshl_add_u32 v126, v128, 2, v127
	v_mov_b32_e32 v68, v1
	ds_write2_b32 v126, v1, v0 offset0:8 offset1:9
	v_mov_b32_e32 v0, v74
	v_mov_b32_e32 v1, v109
	s_mov_b32 s34, s39
	v_pk_mul_f32 v[118:119], v[0:1], s[34:35]
	s_mov_b32 s36, s15
	v_mov_b32_e32 v69, v118
	v_pk_fma_f32 v[134:135], v[0:1], s[34:35], v[68:69] neg_lo:[1,0,0] neg_hi:[1,0,0]
	v_mov_b32_e32 v0, v76
	v_mov_b32_e32 v1, v79
	v_pk_mul_f32 v[120:121], v[0:1], s[36:37]
	s_mov_b32 s0, s39
	v_mov_b32_e32 v69, v120
	s_mov_b32 s1, s14
	v_pk_fma_f32 v[136:137], v[0:1], s[36:37], v[68:69] neg_lo:[1,0,0] neg_hi:[1,0,0]
	s_mov_b32 s36, s9
	s_mov_b32 s60, s35
	;; [unrolled: 1-line block ×5, first 2 shown]
	v_pk_add_f32 v[70:71], v[46:47], v[66:67] neg_lo:[0,1] neg_hi:[0,1]
	v_pk_mul_f32 v[140:141], v[94:95], s[0:1] op_sel:[1,0]
	v_pk_mul_f32 v[138:139], v[70:71], s[36:37] op_sel:[1,0]
	s_mov_b32 s36, s19
	v_pk_fma_f32 v[0:1], v[98:99], s[60:61], v[140:141] op_sel:[1,0,0]
	v_pk_mul_f32 v[142:143], v[74:75], s[42:43] op_sel_hi:[0,1]
	s_mov_b32 s47, 0x3f6f5d39
	s_mov_b32 s46, s23
	;; [unrolled: 1-line block ×5, first 2 shown]
	v_pk_add_f32 v[0:1], v[0:1], v[96:97] op_sel_hi:[1,0]
	v_pk_fma_f32 v[68:69], v[108:109], s[36:37], v[142:143] op_sel:[1,0,0]
	v_pk_mul_f32 v[144:145], v[70:71], s[46:47] op_sel:[1,0]
	s_mov_b32 s46, s37
	v_pk_mul_f32 v[146:147], v[82:83], s[48:49] op_sel_hi:[0,1]
	v_pk_mul_f32 v[106:107], v[44:45], s[30:31] op_sel:[1,0]
	s_mov_b32 s30, s23
	s_mov_b32 s44, s21
	;; [unrolled: 1-line block ×3, first 2 shown]
	v_pk_add_f32 v[72:73], v[42:43], v[62:63] neg_lo:[0,1] neg_hi:[0,1]
	v_pk_add_f32 v[0:1], v[68:69], v[0:1]
	v_pk_fma_f32 v[68:69], v[84:85], s[46:47], v[146:147] op_sel:[1,0,0]
	v_pk_mul_f32 v[148:149], v[72:73], s[30:31] op_sel:[1,0]
	s_mov_b32 s30, s27
	v_pk_mul_f32 v[150:151], v[110:111], s[44:45] op_sel_hi:[0,1]
	s_mov_b32 s34, s27
	s_mov_b32 s54, s14
	;; [unrolled: 1-line block ×3, first 2 shown]
	v_pk_add_f32 v[0:1], v[0:1], v[68:69]
	v_pk_fma_f32 v[68:69], v[112:113], s[30:31], v[150:151] op_sel:[1,0,0]
	v_pk_mul_f32 v[152:153], v[44:45], s[34:35] op_sel:[1,0]
	s_mov_b32 s34, s23
	v_pk_mul_f32 v[154:155], v[38:39], s[54:55] op_sel_hi:[0,1]
	s_mov_b32 s52, s38
	s_mov_b32 s53, s21
	v_pk_add_f32 v[0:1], v[68:69], v[0:1]
	v_pk_fma_f32 v[68:69], v[40:41], s[34:35], v[154:155] op_sel:[1,0,0]
	s_mov_b32 s62, s31
	s_mov_b32 s63, s9
	v_pk_mul_f32 v[156:157], v[76:77], s[52:53] op_sel_hi:[0,1]
	v_pk_add_f32 v[0:1], v[68:69], v[0:1]
	v_pk_fma_f32 v[68:69], v[78:79], s[62:63], v[156:157] op_sel:[1,0,0]
	s_mov_b32 s18, s25
	v_pk_add_f32 v[0:1], v[68:69], v[0:1]
	ds_write2_b32 v126, v1, v0 offset0:10 offset1:11
	v_mov_b32_e32 v68, v1
	v_mov_b32_e32 v0, v110
	;; [unrolled: 1-line block ×3, first 2 shown]
	v_pk_mul_f32 v[158:159], v[0:1], s[18:19]
	s_mov_b32 s64, 0xbeedf032
	v_mov_b32_e32 v69, v158
	v_pk_fma_f32 v[160:161], v[0:1], s[18:19], v[68:69] neg_lo:[1,0,0] neg_hi:[1,0,0]
	v_pk_add_f32 v[0:1], v[6:7], v[46:47]
	s_mov_b32 s65, s35
	v_pk_add_f32 v[0:1], v[0:1], v[42:43]
	s_mov_b32 s18, s35
	v_pk_add_f32 v[0:1], v[0:1], v[34:35]
	v_pk_add_f32 v[68:69], v[54:55], v[58:59]
	v_pk_add_f32 v[0:1], v[0:1], v[54:55]
	v_pk_add_f32 v[54:55], v[54:55], v[58:59] neg_lo:[0,1] neg_hi:[0,1]
	v_pk_add_f32 v[0:1], v[0:1], v[52:53]
	v_pk_add_f32 v[52:53], v[52:53], v[56:57]
	;; [unrolled: 1-line block ×3, first 2 shown]
	s_mov_b32 s26, s19
	v_pk_add_f32 v[0:1], v[0:1], v[48:49]
	v_pk_add_f32 v[48:49], v[50:51], v[48:49]
	;; [unrolled: 1-line block ×3, first 2 shown]
	v_pk_mul_f32 v[50:51], v[70:71], s[64:65] op_sel:[1,0]
	v_pk_add_f32 v[0:1], v[58:59], v[0:1]
	v_pk_mul_f32 v[56:57], v[72:73], s[18:19] op_sel:[1,0]
	v_pk_add_f32 v[0:1], v[60:61], v[0:1]
	v_pk_add_f32 v[60:61], v[34:35], v[60:61]
	;; [unrolled: 1-line block ×6, first 2 shown]
	v_pk_fma_f32 v[42:43], v[62:63], s[24:25], v[56:57] op_sel_hi:[0,1,1] neg_lo:[0,0,1] neg_hi:[0,0,1]
	v_pk_fma_f32 v[34:35], v[66:67], s[38:39], v[50:51] op_sel_hi:[0,1,1] neg_lo:[0,0,1] neg_hi:[0,0,1]
	v_pk_add_f32 v[34:35], v[6:7], v[34:35] op_sel_hi:[0,1]
	v_pk_add_f32 v[34:35], v[34:35], v[42:43]
	v_pk_fma_f32 v[42:43], v[60:61], s[14:15], v[100:101] op_sel_hi:[0,1,1] neg_lo:[0,0,1] neg_hi:[0,0,1]
	v_pk_mul_f32 v[58:59], v[54:55], s[26:27] op_sel:[1,0]
	v_pk_add_f32 v[34:35], v[34:35], v[42:43]
	v_pk_fma_f32 v[42:43], v[68:69], s[20:21], v[58:59] op_sel_hi:[0,1,1] neg_lo:[0,0,1] neg_hi:[0,0,1]
	v_pk_add_f32 v[34:35], v[34:35], v[42:43]
	v_pk_fma_f32 v[42:43], v[52:53], s[28:29], v[88:89] op_sel_hi:[0,1,1] neg_lo:[0,0,1] neg_hi:[0,0,1]
	;; [unrolled: 2-line block ×3, first 2 shown]
	s_mov_b32 s66, s14
	s_mov_b32 s67, s25
	v_pk_add_f32 v[34:35], v[34:35], v[42:43]
	v_pk_fma_f32 v[42:43], v[66:67], s[66:67], v[144:145] op_sel_hi:[0,1,1]
	s_mov_b32 s66, s15
	s_mov_b32 s67, s21
	v_pk_mul_f32 v[46:47], v[72:73], s[8:9] op_sel:[1,0]
	v_pk_add_f32 v[42:43], v[6:7], v[42:43] op_sel_hi:[0,1]
	v_pk_fma_f32 v[46:47], v[62:63], s[66:67], v[46:47] op_sel_hi:[0,1,1]
	s_mov_b32 s68, s19
	s_mov_b32 s69, s64
	v_pk_add_f32 v[42:43], v[42:43], v[46:47]
	s_mov_b32 s66, s25
	s_mov_b32 s67, s38
	v_pk_mul_f32 v[46:47], v[64:65], s[68:69] op_sel:[1,0]
	s_mov_b32 s65, s23
	v_pk_fma_f32 v[46:47], v[60:61], s[66:67], v[46:47] op_sel_hi:[0,1,1]
	v_pk_add_f32 v[42:43], v[42:43], v[46:47]
	s_mov_b32 s66, s38
	s_mov_b32 s67, s14
	v_pk_mul_f32 v[46:47], v[54:55], s[64:65] op_sel:[1,0]
	s_mov_b32 s64, s39
	v_pk_fma_f32 v[46:47], v[68:69], s[66:67], v[46:47] op_sel_hi:[0,1,1]
	s_mov_b32 s65, s15
	v_pk_add_f32 v[42:43], v[42:43], v[46:47]
	v_pk_fma_f32 v[46:47], v[52:53], s[64:65], v[130:131] op_sel_hi:[0,1,1]
	s_mov_b32 s64, s21
	s_mov_b32 s65, s39
	v_pk_add_f32 v[42:43], v[42:43], v[46:47]
	v_pk_fma_f32 v[46:47], v[48:49], s[64:65], v[152:153] op_sel_hi:[0,1,1]
	s_mov_b32 s64, s14
	s_mov_b32 s65, s38
	v_pk_add_f32 v[42:43], v[42:43], v[46:47]
	v_pk_mul_f32 v[46:47], v[62:63], s[64:65] op_sel_hi:[0,1]
	s_mov_b32 s66, s21
	s_mov_b32 s67, s15
	v_add_f32_e32 v51, v149, v47
	v_pk_mul_f32 v[46:47], v[66:67], s[66:67] op_sel_hi:[0,1]
	v_add_f32_e32 v57, v139, v47
	v_pk_fma_f32 v[46:47], v[66:67], s[66:67], v[138:139] op_sel_hi:[0,1,1] neg_lo:[0,0,1] neg_hi:[0,0,1]
	v_pk_add_f32 v[46:47], v[6:7], v[46:47] op_sel_hi:[0,1]
	v_pk_fma_f32 v[130:131], v[62:63], s[64:65], v[148:149] op_sel_hi:[0,1,1] neg_lo:[0,0,1] neg_hi:[0,0,1]
	s_mov_b32 s64, s39
	s_mov_b32 s65, s21
	;; [unrolled: 1-line block ×4, first 2 shown]
	v_pk_add_f32 v[46:47], v[46:47], v[130:131]
	v_pk_mul_f32 v[130:131], v[60:61], s[64:65] op_sel_hi:[0,1]
	v_pk_mul_f32 v[138:139], v[64:65], s[66:67] op_sel:[1,0]
	s_mov_b32 s66, s8
	v_add_f32_e32 v59, v139, v131
	v_pk_fma_f32 v[130:131], v[60:61], s[64:65], v[138:139] op_sel_hi:[0,1,1] neg_lo:[0,0,1] neg_hi:[0,0,1]
	s_mov_b32 s64, s15
	s_mov_b32 s65, s39
	;; [unrolled: 1-line block ×3, first 2 shown]
	v_pk_add_f32 v[46:47], v[46:47], v[130:131]
	v_pk_mul_f32 v[130:131], v[68:69], s[64:65] op_sel_hi:[0,1]
	v_pk_mul_f32 v[138:139], v[54:55], s[66:67] op_sel:[1,0]
	s_mov_b32 s18, s31
	v_add_f32_e32 v89, v139, v131
	v_pk_fma_f32 v[130:131], v[68:69], s[64:65], v[138:139] op_sel_hi:[0,1,1] neg_lo:[0,0,1] neg_hi:[0,0,1]
	s_mov_b32 s64, s38
	s_mov_b32 s65, s25
	v_pk_add_f32 v[46:47], v[46:47], v[130:131]
	v_pk_mul_f32 v[130:131], v[52:53], s[64:65] op_sel_hi:[0,1]
	v_pk_mul_f32 v[138:139], v[36:37], s[18:19] op_sel:[1,0]
	v_mov_b32_e32 v134, v20
	v_add_f32_e32 v101, v139, v131
	v_pk_fma_f32 v[130:131], v[52:53], s[64:65], v[138:139] op_sel_hi:[0,1,1] neg_lo:[0,0,1] neg_hi:[0,0,1]
	s_mov_b32 s64, s25
	s_mov_b32 s65, s14
	v_pk_add_f32 v[46:47], v[46:47], v[130:131]
	v_pk_mul_f32 v[130:131], v[48:49], s[64:65] op_sel_hi:[0,1]
	v_add_f32_e32 v107, v105, v131
	v_pk_fma_f32 v[104:105], v[48:49], s[64:65], v[104:105] op_sel_hi:[0,1,1] neg_lo:[0,0,1] neg_hi:[0,0,1]
	v_pk_add_f32 v[46:47], v[46:47], v[104:105]
	v_mov_b32_e32 v105, 0x3f62ad3f
	v_mov_b32_e32 v104, v18
	v_mul_f32_e32 v131, 0xbeedf032, v99
	v_mov_b32_e32 v130, v10
	v_pk_add_f32 v[138:139], v[94:95], v[18:19]
	v_pk_fma_f32 v[130:131], v[94:95], v[104:105], v[130:131] neg_lo:[0,0,1] neg_hi:[0,0,1]
	v_pk_add_f32 v[138:139], v[138:139], v[10:11]
	v_pk_mul_f32 v[104:105], v[94:95], v[104:105]
	v_mov_b32_e32 v139, v131
	v_fmac_f32_e32 v105, 0xbeedf032, v99
	v_add_f32_e32 v104, v105, v33
	v_pk_add_f32 v[32:33], v[138:139], v[32:33]
	v_mov_b32_e32 v90, v26
	v_pk_add_f32 v[32:33], v[32:33], v[134:135]
	v_mov_b32_e32 v160, v24
	;; [unrolled: 2-line block ×4, first 2 shown]
	v_pk_add_f32 v[32:33], v[32:33], v[92:93]
	v_pk_fma_f32 v[90:91], v[98:99], s[60:61], v[140:141] op_sel:[1,0,0] neg_lo:[1,0,0] neg_hi:[1,0,0]
	v_pk_add_f32 v[32:33], v[136:137], v[32:33]
	ds_write2_b32 v126, v32, v33 offset1:1
	v_pk_fma_f32 v[32:33], v[108:109], s[36:37], v[142:143] op_sel:[1,0,0] neg_lo:[1,0,0] neg_hi:[1,0,0]
	v_pk_add_f32 v[90:91], v[90:91], v[96:97] op_sel_hi:[1,0]
	v_mul_f32_e32 v10, 0x3eedf032, v109
	v_pk_add_f32 v[32:33], v[32:33], v[90:91]
	v_pk_fma_f32 v[90:91], v[84:85], s[46:47], v[146:147] op_sel:[1,0,0] neg_lo:[1,0,0] neg_hi:[1,0,0]
	v_mul_f32_e32 v18, 0x3f62ad3f, v74
	v_pk_add_f32 v[32:33], v[32:33], v[90:91]
	v_pk_fma_f32 v[90:91], v[112:113], s[30:31], v[150:151] op_sel:[1,0,0] neg_lo:[1,0,0] neg_hi:[1,0,0]
	v_add_f32_e32 v57, v6, v57
	v_pk_add_f32 v[32:33], v[90:91], v[32:33]
	v_pk_fma_f32 v[90:91], v[40:41], s[34:35], v[154:155] op_sel:[1,0,0] neg_lo:[1,0,0] neg_hi:[1,0,0]
	v_add_f32_e32 v51, v57, v51
	;; [unrolled: 3-line block ×3, first 2 shown]
	v_pk_add_f32 v[32:33], v[90:91], v[32:33]
	v_pk_fma_f32 v[90:91], v[98:99], s[2:3], v[102:103] op_sel:[1,0,0] neg_lo:[1,0,0] neg_hi:[1,0,0]
	ds_write2_b32 v126, v32, v33 offset0:2 offset1:3
	v_pk_fma_f32 v[32:33], v[108:109], s[22:23], v[114:115] op_sel:[1,0,0] neg_lo:[1,0,0] neg_hi:[1,0,0]
	v_pk_add_f32 v[90:91], v[90:91], v[96:97] op_sel_hi:[1,0]
	v_add_f32_e32 v51, v51, v59
	v_pk_add_f32 v[32:33], v[32:33], v[90:91]
	v_pk_fma_f32 v[90:91], v[84:85], s[56:57], v[116:117] op_sel:[1,0,0] neg_lo:[1,0,0] neg_hi:[1,0,0]
	v_add_f32_e32 v51, v51, v89
	v_pk_add_f32 v[32:33], v[32:33], v[90:91]
	v_pk_fma_f32 v[90:91], v[112:113], s[12:13], v[122:123] op_sel:[1,0,0] neg_lo:[1,0,0] neg_hi:[1,0,0]
	;; [unrolled: 3-line block ×3, first 2 shown]
	v_cmp_gt_u32_e64 s[2:3], 14, v97
	v_pk_add_f32 v[32:33], v[90:91], v[32:33]
	v_pk_fma_f32 v[90:91], v[78:79], s[40:41], v[132:133] op_sel:[1,0,0] neg_lo:[1,0,0] neg_hi:[1,0,0]
	s_nop 0
	v_pk_add_f32 v[32:33], v[90:91], v[32:33]
	ds_write2_b32 v126, v32, v33 offset0:4 offset1:5
	v_pk_add_f32 v[32:33], v[18:19], v[10:11] neg_lo:[0,1] neg_hi:[0,1]
	v_pk_add_f32 v[90:91], v[18:19], v[10:11]
	v_mul_f32_e32 v10, 0xbf3f9e67, v82
	v_mul_f32_e32 v18, 0xbf29c268, v85
	v_pk_add_f32 v[82:83], v[10:11], v[18:19] neg_lo:[0,1] neg_hi:[0,1]
	v_pk_add_f32 v[84:85], v[10:11], v[18:19]
	v_mul_f32_e32 v10, 0x3f116cb1, v110
	v_mul_f32_e32 v18, 0x3f52af12, v113
	v_mov_b32_e32 v33, v90
	v_mov_b32_e32 v83, v84
	v_pk_add_f32 v[84:85], v[10:11], v[18:19] neg_lo:[0,1] neg_hi:[0,1]
	v_pk_add_f32 v[90:91], v[10:11], v[18:19]
	v_mul_f32_e32 v10, 0xbeb58ec6, v38
	v_mul_f32_e32 v18, 0xbf6f5d39, v41
	v_mov_b32_e32 v85, v90
	v_pk_add_f32 v[90:91], v[10:11], v[18:19] neg_lo:[0,1] neg_hi:[0,1]
	v_pk_add_f32 v[92:93], v[10:11], v[18:19]
	v_mul_f32_e32 v10, 0x3df6dbef, v76
	v_mul_f32_e32 v18, 0x3f7e222b, v79
	;; [unrolled: 5-line block ×3, first 2 shown]
	v_pk_add_f32 v[94:95], v[18:19], v[10:11] neg_lo:[0,1] neg_hi:[0,1]
	v_pk_add_f32 v[98:99], v[18:19], v[10:11]
	v_add_f32_e32 v10, v119, v118
	v_mov_b32_e32 v95, v98
	v_pk_add_f32 v[94:95], v[94:95], v[96:97] op_sel_hi:[1,0]
	v_mov_b32_e32 v93, v102
	v_pk_add_f32 v[32:33], v[32:33], v[94:95]
	v_add_f32_e32 v18, v81, v80
	v_pk_add_f32 v[32:33], v[32:33], v[82:83]
	v_add_f32_e32 v10, v10, v104
	;; [unrolled: 2-line block ×4, first 2 shown]
	v_pk_add_f32 v[32:33], v[92:93], v[32:33]
	ds_write2_b32 v126, v32, v33 offset0:6 offset1:7
	v_add_f32_e32 v32, v87, v86
	v_add_f32_e32 v33, v121, v120
	;; [unrolled: 1-line block ×5, first 2 shown]
	ds_write_b32 v126, v10 offset:48
	s_and_saveexec_b64 s[56:57], s[2:3]
	s_cbranch_execz .LBB0_17
; %bb.16:
	v_mov_b32_e32 v32, v66
	v_mov_b32_e32 v33, v66
	v_pk_mul_f32 v[80:81], v[66:67], s[38:39] op_sel_hi:[0,1]
	v_pk_mul_f32 v[92:93], v[62:63], s[24:25] op_sel_hi:[0,1]
	s_mov_b32 s24, s21
	v_mov_b32_e32 v82, v71
	v_mov_b32_e32 v83, v71
	;; [unrolled: 1-line block ×4, first 2 shown]
	v_pk_mul_f32 v[110:111], v[68:69], s[20:21] op_sel_hi:[0,1]
	v_add_f32_e32 v18, v50, v80
	s_mov_b32 s18, s9
	v_pk_mul_f32 v[50:51], v[32:33], s[24:25]
	s_mov_b32 s20, s14
	v_mov_b32_e32 v84, v6
	v_mov_b32_e32 v85, v6
	;; [unrolled: 1-line block ×4, first 2 shown]
	v_add_f32_e32 v10, v56, v92
	v_pk_fma_f32 v[50:51], v[82:83], s[18:19], v[50:51]
	s_mov_b32 s26, s23
	v_pk_mul_f32 v[56:57], v[90:91], s[20:21]
	v_mov_b32_e32 v98, v60
	v_mov_b32_e32 v99, v60
	v_pk_mul_f32 v[102:103], v[60:61], s[14:15] op_sel_hi:[0,1]
	v_add_f32_e32 v18, v6, v18
	v_pk_add_f32 v[50:51], v[84:85], v[50:51]
	v_pk_fma_f32 v[56:57], v[94:95], s[26:27], v[56:57]
	s_mov_b32 s20, s39
	s_mov_b32 s21, s38
	v_mov_b32_e32 v104, v65
	v_mov_b32_e32 v105, v65
	v_add_f32_e32 v10, v18, v10
	v_add_f32_e32 v18, v100, v102
	v_pk_add_f32 v[50:51], v[50:51], v[56:57]
	s_mov_b32 s30, s35
	v_pk_mul_f32 v[56:57], v[98:99], s[20:21]
	v_mov_b32_e32 v108, v68
	v_mov_b32_e32 v109, v68
	v_pk_mul_f32 v[116:117], v[52:53], s[28:29] op_sel_hi:[0,1]
	v_add_f32_e32 v10, v10, v18
	v_add_f32_e32 v18, v58, v110
	v_pk_fma_f32 v[56:57], v[104:105], s[30:31], v[56:57]
	s_mov_b32 s28, s15
	s_mov_b32 s29, s14
	v_mov_b32_e32 v112, v55
	v_mov_b32_e32 v113, v55
	v_pk_mul_f32 v[122:123], v[48:49], s[50:51] op_sel_hi:[0,1]
	v_add_f32_e32 v10, v10, v18
	v_add_f32_e32 v18, v88, v116
	v_pk_add_f32 v[50:51], v[50:51], v[56:57]
	s_mov_b32 s20, s8
	s_mov_b32 s21, s12
	v_pk_mul_f32 v[56:57], v[108:109], s[28:29]
	v_mov_b32_e32 v114, v52
	v_mov_b32_e32 v115, v52
	v_add_f32_e32 v10, v10, v18
	v_add_f32_e32 v18, v106, v122
	v_pk_fma_f32 v[56:57], v[112:113], s[20:21], v[56:57]
	s_mov_b32 s14, s38
	v_mov_b32_e32 v118, v37
	v_mov_b32_e32 v119, v37
	v_add_f32_e32 v10, v10, v18
	v_add_u32_e32 v18, 0x1280, v126
	v_pk_add_f32 v[50:51], v[50:51], v[56:57]
	s_mov_b32 s20, s31
	s_mov_b32 s21, s8
	v_pk_mul_f32 v[56:57], v[114:115], s[14:15]
	v_mov_b32_e32 v120, v48
	v_mov_b32_e32 v121, v48
	ds_write2_b32 v18, v34, v35 offset1:1
	v_add_u32_e32 v18, 0x1288, v126
	v_pk_fma_f32 v[56:57], v[118:119], s[20:21], v[56:57]
	s_mov_b32 s38, s25
	v_mov_b32_e32 v124, v45
	v_mov_b32_e32 v125, v45
	ds_write2_b32 v18, v42, v43 offset1:1
	v_add_u32_e32 v18, 0x1290, v126
	v_pk_add_f32 v[50:51], v[50:51], v[56:57]
	s_mov_b32 s14, s19
	s_mov_b32 s15, s40
	v_pk_mul_f32 v[56:57], v[120:121], s[38:39]
	ds_write2_b32 v18, v46, v47 offset1:1
	v_add_u32_e32 v18, 0x1000, v126
	v_pk_fma_f32 v[56:57], v[124:125], s[14:15], v[56:57]
	ds_write2_b32 v18, v0, v87 offset0:159 offset1:166
	v_add_u32_e32 v0, 0x129c, v126
	v_pk_add_f32 v[50:51], v[50:51], v[56:57]
	s_mov_b32 s13, s35
	v_pk_mul_f32 v[32:33], v[32:33], s[54:55]
	ds_write2_b32 v0, v50, v51 offset1:1
	v_pk_fma_f32 v[32:33], v[82:83], s[12:13], v[32:33]
	s_mov_b32 s18, s37
	v_pk_mul_f32 v[50:51], v[90:91], s[48:49]
	v_pk_add_f32 v[32:33], v[84:85], v[32:33]
	v_pk_fma_f32 v[50:51], v[94:95], s[18:19], v[50:51]
	s_mov_b32 s36, s47
	v_pk_add_f32 v[32:33], v[32:33], v[50:51]
	v_pk_mul_f32 v[50:51], v[98:99], s[42:43]
	s_mov_b32 s26, s31
	v_pk_fma_f32 v[50:51], v[104:105], s[36:37], v[50:51]
	s_mov_b32 s22, s35
	v_pk_add_f32 v[32:33], v[32:33], v[50:51]
	v_pk_mul_f32 v[50:51], v[108:109], s[52:53]
	s_mov_b32 s30, s9
	v_pk_fma_f32 v[50:51], v[112:113], s[26:27], v[50:51]
	v_add_u32_e32 v0, 0x12a4, v126
	v_pk_add_f32 v[32:33], v[32:33], v[50:51]
	v_pk_mul_f32 v[50:51], v[114:115], s[0:1]
	s_nop 0
	v_pk_fma_f32 v[50:51], v[118:119], s[22:23], v[50:51]
	s_nop 0
	v_pk_add_f32 v[32:33], v[32:33], v[50:51]
	v_pk_mul_f32 v[50:51], v[120:121], s[44:45]
	s_nop 0
	v_pk_fma_f32 v[50:51], v[124:125], s[30:31], v[50:51]
	s_nop 0
	v_pk_add_f32 v[32:33], v[32:33], v[50:51]
	ds_write2_b32 v0, v32, v33 offset1:1
	ds_write_b32 v126, v10 offset:4780
.LBB0_17:
	s_or_b64 exec, exec, s[56:57]
	v_lshlrev_b32_e32 v86, 2, v128
	v_mul_i32_i24_e32 v10, 0xffffffd0, v97
	v_add3_u32 v85, v127, v10, v86
	v_add_u32_e32 v10, 0x400, v85
	s_waitcnt lgkmcnt(0)
	s_barrier
	ds_read2_b32 v[50:51], v10 offset0:30 offset1:134
	v_add_u32_e32 v10, 0x600, v85
	ds_read2_b32 v[56:57], v10 offset0:97 offset1:201
	v_add_u32_e32 v10, 0xa00, v85
	;; [unrolled: 2-line block ×3, first 2 shown]
	v_lshlrev_b32_e32 v0, 2, v97
	ds_read2_b32 v[80:81], v10 offset0:103 offset1:207
	v_add_u32_e32 v10, 0x1000, v85
	v_add3_u32 v84, 0, v86, v0
	ds_read2_b32 v[32:33], v85 offset0:91 offset1:195
	ds_read2_b32 v[82:83], v10 offset0:42 offset1:146
	ds_read_b32 v88, v84
	ds_read_b32 v89, v85 offset:5044
	v_cmp_gt_u32_e64 s[0:1], 13, v97
	s_and_saveexec_b64 s[8:9], s[0:1]
	s_cbranch_execz .LBB0_19
; %bb.18:
	v_add_u32_e32 v10, 0x200, v85
	ds_read2_b32 v[34:35], v10 offset0:54 offset1:249
	v_add_u32_e32 v10, 0x800, v85
	ds_read2_b32 v[42:43], v10 offset0:60 offset1:255
	;; [unrolled: 2-line block ×3, first 2 shown]
	ds_read_b32 v87, v85 offset:5408
.LBB0_19:
	s_or_b64 exec, exec, s[8:9]
	v_pk_add_f32 v[90:91], v[28:29], v[30:31]
	v_mov_b32_e32 v92, v30
	v_pk_add_f32 v[90:91], v[90:91], v[12:13]
	v_mov_b32_e32 v93, v25
	v_mov_b32_e32 v94, v27
	;; [unrolled: 1-line block ×3, first 2 shown]
	v_pk_add_f32 v[90:91], v[90:91], v[22:23]
	v_pk_add_f32 v[92:93], v[92:93], v[94:95]
	v_mov_b32_e32 v94, v8
	v_mov_b32_e32 v95, v22
	;; [unrolled: 1-line block ×4, first 2 shown]
	v_pk_add_f32 v[22:23], v[94:95], v[22:23] neg_lo:[0,1] neg_hi:[0,1]
	v_mov_b32_e32 v94, v93
	v_mov_b32_e32 v95, v23
	s_mov_b32 s9, 0xbf7e222b
	s_mov_b32 s8, 0x3df6dbef
	s_mov_b32 s14, 0xbeb58ec6
	v_pk_mul_f32 v[98:99], v[94:95], s[8:9]
	v_mov_b32_e32 v100, v92
	v_mov_b32_e32 v101, v22
	s_mov_b32 s15, 0xbf6f5d39
	v_mov_b32_e32 v13, v98
	v_pk_mul_f32 v[102:103], v[100:101], s[14:15]
	v_pk_fma_f32 v[94:95], v[94:95], s[8:9], v[12:13]
	v_mov_b32_e32 v13, v102
	v_pk_fma_f32 v[100:101], v[100:101], s[14:15], v[12:13]
	v_mov_b32_e32 v13, v9
	v_mov_b32_e32 v8, v16
	;; [unrolled: 1-line block ×3, first 2 shown]
	s_mov_b32 s12, 0x3f116cb1
	v_pk_add_f32 v[8:9], v[12:13], v[8:9] neg_lo:[0,1] neg_hi:[0,1]
	s_mov_b32 s13, 0xbf3f9e67
	v_mov_b32_e32 v100, v25
	v_mov_b32_e32 v24, v75
	;; [unrolled: 1-line block ×3, first 2 shown]
	s_mov_b32 s23, 0xbf52af12
	s_mov_b32 s22, s12
	v_mov_b32_e32 v90, v91
	v_mov_b32_e32 v91, v15
	;; [unrolled: 1-line block ×3, first 2 shown]
	v_pk_mul_f32 v[26:27], v[24:25], s[22:23]
	v_pk_add_f32 v[30:31], v[90:91], v[30:31]
	v_mov_b32_e32 v91, 0x3f62ad3f
	v_mov_b32_e32 v90, v19
	;; [unrolled: 1-line block ×3, first 2 shown]
	s_mov_b32 s25, 0xbe750f2a
	s_mov_b32 s24, 0x3eedf032
	;; [unrolled: 1-line block ×3, first 2 shown]
	v_pk_add_f32 v[18:19], v[30:31], v[90:91]
	v_pk_mul_f32 v[90:91], v[30:31], v[90:91]
	v_pk_fma_f32 v[24:25], v[24:25], s[22:23], v[104:105]
	v_sub_f32_e32 v10, v26, v27
	v_pk_mul_f32 v[26:27], v[8:9], s[24:25]
	v_mov_b32_e32 v104, v75
	v_mov_b32_e32 v105, v31
	s_mov_b32 s21, 0xbf788fa5
	s_mov_b32 s18, 0x3f52af12
	v_mov_b32_e32 v19, v91
	v_mov_b32_e32 v24, v21
	v_fmac_f32_e32 v91, 0x3eedf032, v9
	v_pk_fma_f32 v[20:21], v[104:105], s[20:21], v[26:27]
	s_mov_b32 s19, 0xbf29c268
	v_add_f32_e32 v12, v91, v29
	v_pk_add_f32 v[90:91], v[20:21], v[28:29]
	v_pk_fma_f32 v[26:27], v[104:105], s[20:21], v[26:27] neg_lo:[0,0,1] neg_hi:[0,0,1]
	v_sub_f32_e32 v96, v98, v99
	v_pk_mul_f32 v[98:99], v[22:23], s[18:19]
	v_pk_add_f32 v[104:105], v[26:27], v[28:29]
	v_add_f32_e32 v12, v10, v12
	v_mov_b32_e32 v10, v91
	v_sub_f32_e32 v106, v102, v103
	v_pk_fma_f32 v[102:103], v[92:93], s[12:13], v[98:99]
	v_pk_add_f32 v[20:21], v[20:21], v[10:11]
	v_mov_b32_e32 v10, v105
	v_pk_fma_f32 v[98:99], v[92:93], s[12:13], v[98:99] neg_lo:[0,0,1] neg_hi:[0,0,1]
	v_pk_add_f32 v[26:27], v[26:27], v[10:11]
	v_mov_b32_e32 v10, v103
	v_pk_add_f32 v[20:21], v[20:21], v[10:11]
	v_mov_b32_e32 v10, v99
	;; [unrolled: 2-line block ×3, first 2 shown]
	v_mov_b32_e32 v91, v40
	s_mov_b32 s26, s13
	s_mov_b32 s27, s19
	v_pk_add_f32 v[26:27], v[98:99], v[26:27]
	v_pk_mul_f32 v[98:99], v[90:91], s[26:27]
	v_add_f32_e32 v12, v12, v96
	v_mov_b32_e32 v27, v98
	v_pk_add_f32 v[20:21], v[102:103], v[20:21]
	v_pk_fma_f32 v[102:103], v[90:91], s[26:27], v[26:27]
	v_add_f32_e32 v10, v106, v12
	v_mov_b32_e32 v102, v17
	v_sub_f32_e32 v12, v98, v99
	v_pk_mul_f32 v[16:17], v[90:91], s[14:15]
	v_mul_f32_e32 v13, 0xbeedf032, v9
	v_add_f32_e32 v14, v12, v10
	v_mov_b32_e32 v10, v17
	v_mov_b32_e32 v12, v11
	v_pk_fma_f32 v[98:99], v[90:91], s[14:15], v[10:11]
	v_pk_add_f32 v[10:11], v[18:19], v[12:13]
	v_mov_b32_e32 v12, v77
	v_pk_add_f32 v[10:11], v[10:11], v[28:29]
	v_mov_b32_e32 v13, v78
	s_mov_b32 s26, s21
	s_mov_b32 s27, s25
	v_mov_b32_e32 v17, v16
	v_pk_add_f32 v[10:11], v[10:11], v[24:25]
	v_pk_mul_f32 v[18:19], v[12:13], s[26:27]
	v_pk_fma_f32 v[90:91], v[90:91], s[14:15], v[16:17] neg_lo:[1,0,0] neg_hi:[1,0,0]
	v_pk_add_f32 v[10:11], v[10:11], v[94:95]
	v_mov_b32_e32 v17, v18
	v_pk_add_f32 v[10:11], v[10:11], v[100:101]
	v_pk_fma_f32 v[12:13], v[12:13], s[26:27], v[16:17]
	v_pk_add_f32 v[10:11], v[10:11], v[102:103]
	v_mov_b32_e32 v12, v15
	v_pk_add_f32 v[16:17], v[12:13], v[10:11]
	v_sub_f32_e32 v10, v18, v19
	s_mov_b32 s26, s23
	s_mov_b32 s27, s9
	v_add_f32_e32 v96, v10, v14
	v_pk_mul_f32 v[10:11], v[8:9], s[26:27] op_sel:[1,0]
	s_mov_b32 s30, s15
	s_mov_b32 s31, s25
	;; [unrolled: 1-line block ×6, first 2 shown]
	v_pk_mul_f32 v[12:13], v[8:9], s[30:31] op_sel_hi:[0,1]
	s_mov_b32 s43, 0x3f6f5d39
	s_mov_b32 s42, s25
	v_pk_fma_f32 v[102:103], v[30:31], s[36:37], v[10:11] op_sel:[1,0,0]
	v_pk_fma_f32 v[14:15], v[74:75], s[26:27], v[12:13] op_sel:[1,0,0]
	s_mov_b32 s30, s21
	s_mov_b32 s31, s14
	v_pk_mul_f32 v[18:19], v[22:23], s[42:43] op_sel:[1,0]
	s_mov_b32 s44, 0x3f29c268
	s_mov_b32 s45, s24
	v_pk_add_f32 v[102:103], v[102:103], v[28:29] op_sel:[0,1]
	v_pk_fma_f32 v[24:25], v[92:93], s[30:31], v[18:19] op_sel:[1,0,0]
	s_mov_b32 s34, s13
	s_mov_b32 s35, s20
	v_pk_mul_f32 v[94:95], v[22:23], s[44:45] op_sel_hi:[0,1]
	v_pk_add_f32 v[14:15], v[14:15], v[102:103]
	s_mov_b32 s22, 0x3f7e222b
	v_pk_fma_f32 v[100:101], v[92:93], s[34:35], v[94:95] op_sel_hi:[0,1,1]
	v_pk_add_f32 v[14:15], v[14:15], v[24:25]
	s_mov_b32 s38, s8
	s_mov_b32 s39, s12
	v_pk_mul_f32 v[24:25], v[40:41], s[22:23] op_sel_hi:[0,1]
	v_pk_add_f32 v[14:15], v[100:101], v[14:15]
	v_pk_fma_f32 v[100:101], v[38:39], s[38:39], v[24:25] op_sel:[1,0,0]
	s_mov_b32 s46, s24
	s_mov_b32 s47, s19
	v_pk_add_f32 v[14:15], v[100:101], v[14:15]
	s_mov_b32 s40, s20
	s_mov_b32 s41, s13
	v_pk_mul_f32 v[100:101], v[78:79], s[46:47] op_sel_hi:[0,1]
	v_pk_fma_f32 v[10:11], v[30:31], s[36:37], v[10:11] op_sel:[1,0,0] neg_lo:[0,0,1] neg_hi:[0,0,1]
	v_pk_fma_f32 v[102:103], v[76:77], s[40:41], v[100:101] op_sel:[1,0,0]
	v_pk_fma_f32 v[12:13], v[74:75], s[26:27], v[12:13] op_sel:[1,0,0] neg_lo:[0,0,1] neg_hi:[0,0,1]
	v_pk_add_f32 v[10:11], v[10:11], v[28:29] op_sel:[0,1]
	v_pk_add_f32 v[102:103], v[102:103], v[14:15]
	v_pk_fma_f32 v[14:15], v[92:93], s[30:31], v[18:19] op_sel:[1,0,0] neg_lo:[0,0,1] neg_hi:[0,0,1]
	v_pk_add_f32 v[10:11], v[12:13], v[10:11]
	v_pk_fma_f32 v[18:19], v[92:93], s[34:35], v[94:95] op_sel_hi:[0,1,1] neg_lo:[0,0,1] neg_hi:[0,0,1]
	v_pk_add_f32 v[10:11], v[10:11], v[14:15]
	v_pk_fma_f32 v[12:13], v[38:39], s[38:39], v[24:25] op_sel:[1,0,0] neg_lo:[0,0,1] neg_hi:[0,0,1]
	v_pk_add_f32 v[10:11], v[18:19], v[10:11]
	s_mov_b32 s26, s15
	v_pk_add_f32 v[10:11], v[12:13], v[10:11]
	v_pk_fma_f32 v[12:13], v[76:77], s[40:41], v[100:101] op_sel:[1,0,0] neg_lo:[0,0,1] neg_hi:[0,0,1]
	s_mov_b32 s27, s19
	v_pk_add_f32 v[94:95], v[12:13], v[10:11]
	v_pk_mul_f32 v[10:11], v[8:9], s[26:27] op_sel:[1,0]
	s_mov_b32 s45, s22
	s_mov_b32 s36, s14
	;; [unrolled: 1-line block ×5, first 2 shown]
	v_pk_mul_f32 v[8:9], v[8:9], s[44:45] op_sel_hi:[0,1]
	s_mov_b32 s34, s24
	s_mov_b32 s35, s23
	v_pk_fma_f32 v[100:101], v[30:31], s[36:37], v[10:11] op_sel:[1,0,0]
	v_pk_fma_f32 v[12:13], v[74:75], s[26:27], v[8:9] op_sel:[1,0,0]
	s_mov_b32 s30, s20
	s_mov_b32 s31, s12
	v_pk_mul_f32 v[14:15], v[22:23], s[34:35] op_sel:[1,0]
	s_mov_b32 s47, 0x3e750f2a
	s_mov_b32 s46, s9
	v_pk_add_f32 v[100:101], v[100:101], v[28:29] op_sel:[0,1]
	v_pk_fma_f32 v[18:19], v[92:93], s[30:31], v[14:15] op_sel:[1,0,0]
	s_mov_b32 s34, s8
	s_mov_b32 s35, s21
	v_pk_mul_f32 v[22:23], v[22:23], s[46:47] op_sel_hi:[0,1]
	v_pk_add_f32 v[12:13], v[12:13], v[100:101]
	s_mov_b32 s40, s47
	s_mov_b32 s41, s24
	v_pk_fma_f32 v[24:25], v[92:93], s[34:35], v[22:23] op_sel_hi:[0,1,1]
	v_pk_add_f32 v[12:13], v[12:13], v[18:19]
	s_mov_b32 s38, s21
	s_mov_b32 s39, s20
	v_pk_mul_f32 v[18:19], v[40:41], s[40:41] op_sel_hi:[0,1]
	v_pk_add_f32 v[12:13], v[24:25], v[12:13]
	v_pk_fma_f32 v[24:25], v[38:39], s[38:39], v[18:19] op_sel:[1,0,0]
	s_mov_b32 s48, s18
	s_mov_b32 s49, s15
	v_pk_add_f32 v[12:13], v[24:25], v[12:13]
	s_mov_b32 s40, s12
	s_mov_b32 s41, s14
	v_pk_mul_f32 v[24:25], v[78:79], s[48:49] op_sel_hi:[0,1]
	v_pk_fma_f32 v[10:11], v[30:31], s[36:37], v[10:11] op_sel:[1,0,0] neg_lo:[0,0,1] neg_hi:[0,0,1]
	v_pk_fma_f32 v[40:41], v[76:77], s[40:41], v[24:25] op_sel:[1,0,0]
	v_pk_fma_f32 v[8:9], v[74:75], s[26:27], v[8:9] op_sel:[1,0,0] neg_lo:[0,0,1] neg_hi:[0,0,1]
	v_pk_add_f32 v[10:11], v[10:11], v[28:29] op_sel:[0,1]
	v_pk_add_f32 v[100:101], v[40:41], v[12:13]
	v_pk_fma_f32 v[12:13], v[92:93], s[30:31], v[14:15] op_sel:[1,0,0] neg_lo:[0,0,1] neg_hi:[0,0,1]
	v_pk_add_f32 v[8:9], v[8:9], v[10:11]
	v_pk_fma_f32 v[14:15], v[92:93], s[34:35], v[22:23] op_sel_hi:[0,1,1] neg_lo:[0,0,1] neg_hi:[0,0,1]
	v_pk_add_f32 v[8:9], v[8:9], v[12:13]
	v_pk_fma_f32 v[10:11], v[38:39], s[38:39], v[18:19] op_sel:[1,0,0] neg_lo:[0,0,1] neg_hi:[0,0,1]
	v_pk_add_f32 v[8:9], v[14:15], v[8:9]
	v_mul_f32_e32 v90, 0x3f7e222b, v78
	v_pk_add_f32 v[8:9], v[10:11], v[8:9]
	v_pk_fma_f32 v[10:11], v[76:77], s[40:41], v[24:25] op_sel:[1,0,0] neg_lo:[0,0,1] neg_hi:[0,0,1]
	s_mov_b32 s28, 0xbeedf032
	v_pk_add_f32 v[92:93], v[10:11], v[8:9]
	v_mul_f32_e32 v8, 0x3df6dbef, v77
	v_mov_b32_e32 v9, v26
	v_pk_add_f32 v[10:11], v[8:9], v[90:91]
	v_mov_b32_e32 v12, v20
	v_mov_b32_e32 v13, v8
	;; [unrolled: 1-line block ×4, first 2 shown]
	s_mov_b32 s29, s23
	v_pk_add_f32 v[14:15], v[20:21], v[98:99]
	v_pk_add_f32 v[8:9], v[12:13], v[8:9] neg_lo:[0,1] neg_hi:[0,1]
	v_pk_mul_f32 v[18:19], v[70:71], s[28:29] op_sel_hi:[0,1]
	s_mov_b32 s28, s23
	s_mov_b32 s29, s15
	v_mov_b32_e32 v15, v9
	v_pk_fma_f32 v[8:9], v[66:67], s[30:31], v[18:19] op_sel:[1,0,0]
	v_pk_mul_f32 v[20:21], v[72:73], s[28:29] op_sel_hi:[0,1]
	s_mov_b32 s28, s9
	s_mov_b32 s29, s25
	v_pk_add_f32 v[90:91], v[10:11], v[14:15]
	v_pk_add_f32 v[8:9], v[6:7], v[8:9] op_sel:[1,0]
	v_pk_fma_f32 v[10:11], v[62:63], s[40:41], v[20:21] op_sel:[1,0,0]
	v_pk_mul_f32 v[22:23], v[64:65], s[28:29] op_sel_hi:[0,1]
	s_mov_b32 s28, s15
	s_mov_b32 s29, s44
	v_pk_add_f32 v[8:9], v[8:9], v[10:11]
	v_pk_fma_f32 v[10:11], v[60:61], s[34:35], v[22:23] op_sel:[1,0,0]
	v_pk_mul_f32 v[24:25], v[54:55], s[28:29] op_sel_hi:[0,1]
	s_mov_b32 s28, s19
	s_mov_b32 s29, s22
	v_pk_add_f32 v[8:9], v[8:9], v[10:11]
	;; [unrolled: 5-line block ×3, first 2 shown]
	v_pk_fma_f32 v[10:11], v[52:53], s[26:27], v[26:27] op_sel:[1,0,0]
	v_pk_mul_f32 v[28:29], v[44:45], s[28:29] op_sel_hi:[0,1]
	s_mov_b32 s48, s9
	v_pk_add_f32 v[8:9], v[8:9], v[10:11]
	v_pk_fma_f32 v[10:11], v[48:49], s[38:39], v[28:29] op_sel:[1,0,0]
	s_mov_b32 s28, s8
	s_mov_b32 s29, s14
	v_pk_mul_f32 v[30:31], v[70:71], s[48:49] op_sel_hi:[0,1]
	s_mov_b32 s50, s25
	s_mov_b32 s51, s44
	v_pk_add_f32 v[8:9], v[8:9], v[10:11]
	v_pk_fma_f32 v[10:11], v[66:67], s[28:29], v[30:31] op_sel:[1,0,0]
	s_mov_b32 s48, s21
	s_mov_b32 s49, s13
	v_pk_mul_f32 v[38:39], v[72:73], s[50:51] op_sel_hi:[0,1]
	s_mov_b32 s42, s43
	s_mov_b32 s43, s24
	v_pk_add_f32 v[10:11], v[6:7], v[10:11] op_sel:[1,0]
	v_pk_fma_f32 v[12:13], v[62:63], s[48:49], v[38:39] op_sel:[1,0,0]
	s_mov_b32 s44, s14
	s_mov_b32 s45, s20
	v_pk_mul_f32 v[40:41], v[64:65], s[42:43] op_sel_hi:[0,1]
	s_mov_b32 s50, s24
	s_mov_b32 s51, s9
	v_pk_add_f32 v[10:11], v[10:11], v[12:13]
	v_pk_fma_f32 v[12:13], v[60:61], s[44:45], v[40:41] op_sel:[1,0,0]
	s_mov_b32 s42, s20
	s_mov_b32 s43, s8
	v_pk_mul_f32 v[74:75], v[54:55], s[50:51] op_sel_hi:[0,1]
	s_mov_b32 s46, s23
	v_pk_add_f32 v[10:11], v[10:11], v[12:13]
	v_pk_fma_f32 v[12:13], v[68:69], s[42:43], v[74:75] op_sel:[1,0,0]
	s_mov_b32 s50, s12
	s_mov_b32 s51, s21
	v_pk_mul_f32 v[76:77], v[36:37], s[46:47] op_sel_hi:[0,1]
	s_mov_b32 s54, s19
	s_mov_b32 s55, s18
	v_pk_add_f32 v[10:11], v[10:11], v[12:13]
	v_pk_fma_f32 v[12:13], v[52:53], s[50:51], v[76:77] op_sel:[1,0,0]
	s_mov_b32 s52, s13
	s_mov_b32 s53, s12
	v_pk_mul_f32 v[78:79], v[44:45], s[54:55] op_sel_hi:[0,1]
	s_mov_b32 s56, s19
	;; [unrolled: 7-line block ×3, first 2 shown]
	s_mov_b32 s57, s24
	v_pk_add_f32 v[10:11], v[10:11], v[12:13]
	v_pk_fma_f32 v[12:13], v[66:67], s[54:55], v[14:15] op_sel:[1,0,0]
	s_mov_b32 s9, s20
	v_pk_mul_f32 v[70:71], v[72:73], s[56:57] op_sel_hi:[0,1]
	s_mov_b32 s56, s23
	s_mov_b32 s57, s19
	v_pk_fma_f32 v[14:15], v[66:67], s[54:55], v[14:15] op_sel:[1,0,0] neg_lo:[0,0,1] neg_hi:[0,0,1]
	v_pk_add_f32 v[12:13], v[6:7], v[12:13] op_sel:[1,0]
	v_pk_fma_f32 v[72:73], v[62:63], s[8:9], v[70:71] op_sel:[1,0,0]
	v_pk_mul_f32 v[64:65], v[64:65], s[56:57] op_sel_hi:[0,1]
	s_mov_b32 s46, s47
	s_mov_b32 s47, s18
	v_pk_add_f32 v[14:15], v[6:7], v[14:15] op_sel:[1,0]
	v_pk_fma_f32 v[70:71], v[62:63], s[8:9], v[70:71] op_sel:[1,0,0] neg_lo:[0,0,1] neg_hi:[0,0,1]
	v_pk_add_f32 v[12:13], v[12:13], v[72:73]
	v_pk_fma_f32 v[72:73], v[60:61], s[12:13], v[64:65] op_sel:[1,0,0]
	s_mov_b32 s56, s21
	s_mov_b32 s57, s12
	v_pk_mul_f32 v[54:55], v[54:55], s[46:47] op_sel_hi:[0,1]
	s_mov_b32 s25, s15
	v_pk_add_f32 v[14:15], v[14:15], v[70:71]
	v_pk_fma_f32 v[64:65], v[60:61], s[12:13], v[64:65] op_sel:[1,0,0] neg_lo:[0,0,1] neg_hi:[0,0,1]
	v_pk_add_f32 v[12:13], v[12:13], v[72:73]
	v_pk_fma_f32 v[72:73], v[68:69], s[56:57], v[54:55] op_sel:[1,0,0]
	s_mov_b32 s21, s14
	v_pk_mul_f32 v[36:37], v[36:37], s[24:25] op_sel_hi:[0,1]
	s_mov_b32 s18, s14
	s_mov_b32 s14, s15
	;; [unrolled: 1-line block ×3, first 2 shown]
	v_pk_add_f32 v[14:15], v[14:15], v[64:65]
	v_pk_fma_f32 v[54:55], v[68:69], s[56:57], v[54:55] op_sel:[1,0,0] neg_lo:[0,0,1] neg_hi:[0,0,1]
	v_pk_add_f32 v[12:13], v[12:13], v[72:73]
	v_pk_fma_f32 v[72:73], v[52:53], s[20:21], v[36:37] op_sel:[1,0,0]
	s_mov_b32 s19, s8
	v_pk_mul_f32 v[44:45], v[44:45], s[14:15] op_sel_hi:[0,1]
	v_pk_add_f32 v[14:15], v[14:15], v[54:55]
	v_pk_fma_f32 v[36:37], v[52:53], s[20:21], v[36:37] op_sel:[1,0,0] neg_lo:[0,0,1] neg_hi:[0,0,1]
	v_pk_add_f32 v[12:13], v[12:13], v[72:73]
	v_pk_fma_f32 v[72:73], v[48:49], s[18:19], v[44:45] op_sel:[1,0,0]
	v_pk_add_f32 v[14:15], v[14:15], v[36:37]
	v_pk_fma_f32 v[36:37], v[48:49], s[18:19], v[44:45] op_sel:[1,0,0] neg_lo:[0,0,1] neg_hi:[0,0,1]
	v_pk_add_f32 v[12:13], v[12:13], v[72:73]
	v_pk_add_f32 v[14:15], v[14:15], v[36:37]
	v_add_u32_e32 v36, 0x5b, v97
	s_waitcnt lgkmcnt(0)
	s_barrier
	ds_write2_b32 v126, v16, v17 offset1:1
	ds_write2_b32 v126, v102, v103 offset0:2 offset1:3
	ds_write2_b32 v126, v100, v101 offset0:4 offset1:5
	;; [unrolled: 1-line block ×4, first 2 shown]
	v_mov_b32_e32 v6, v95
	ds_write2_b32 v126, v95, v94 offset0:10 offset1:11
	ds_write_b32 v126, v96 offset:48
	s_and_saveexec_b64 s[8:9], s[2:3]
	s_cbranch_execz .LBB0_21
; %bb.20:
	v_pk_mul_f32 v[16:17], v[66:67], s[30:31] op_sel:[1,0]
	v_mov_b32_e32 v6, v7
	v_pk_mul_f32 v[44:45], v[62:63], s[40:41] op_sel:[1,0]
	v_pk_add_f32 v[16:17], v[16:17], v[18:19] neg_lo:[0,1] neg_hi:[0,1]
	v_pk_mul_f32 v[54:55], v[60:61], s[34:35] op_sel:[1,0]
	v_pk_add_f32 v[16:17], v[6:7], v[16:17]
	v_pk_add_f32 v[18:19], v[44:45], v[20:21] neg_lo:[0,1] neg_hi:[0,1]
	v_pk_mul_f32 v[64:65], v[68:69], s[36:37] op_sel:[1,0]
	v_pk_add_f32 v[16:17], v[16:17], v[18:19]
	;; [unrolled: 3-line block ×10, first 2 shown]
	v_pk_add_f32 v[18:19], v[52:53], v[76:77] neg_lo:[0,1] neg_hi:[0,1]
	s_nop 0
	v_pk_add_f32 v[6:7], v[6:7], v[18:19]
	v_pk_add_f32 v[18:19], v[48:49], v[78:79] neg_lo:[0,1] neg_hi:[0,1]
	s_nop 0
	v_pk_add_f32 v[6:7], v[6:7], v[18:19]
	v_mul_u32_u24_e32 v18, 52, v36
	v_add3_u32 v19, 0, v18, v86
	ds_write_b32 v19, v1
	ds_write2_b32 v19, v8, v9 offset0:1 offset1:2
	ds_write2_b32 v19, v10, v11 offset0:3 offset1:4
	;; [unrolled: 1-line block ×4, first 2 shown]
	v_mov_b32_e32 v14, v7
	ds_write2_b32 v19, v7, v6 offset0:9 offset1:10
	v_mov_b32_e32 v1, v16
	ds_write2_b32 v19, v17, v16 offset0:11 offset1:12
.LBB0_21:
	s_or_b64 exec, exec, s[8:9]
	v_add_u32_e32 v1, 0x400, v85
	s_waitcnt lgkmcnt(0)
	s_barrier
	ds_read2_b32 v[16:17], v1 offset0:30 offset1:134
	v_add_u32_e32 v1, 0x600, v85
	ds_read2_b32 v[18:19], v1 offset0:97 offset1:201
	v_add_u32_e32 v1, 0xa00, v85
	;; [unrolled: 2-line block ×4, first 2 shown]
	ds_read2_b32 v[6:7], v85 offset0:91 offset1:195
	ds_read2_b32 v[24:25], v1 offset0:42 offset1:146
	ds_read_b32 v1, v84
	ds_read_b32 v38, v85 offset:5044
	s_and_saveexec_b64 s[2:3], s[0:1]
	s_cbranch_execz .LBB0_23
; %bb.22:
	v_add_u32_e32 v8, 0x200, v85
	v_add_u32_e32 v10, 0x800, v85
	v_add_u32_e32 v12, 0xf00, v85
	ds_read2_b32 v[8:9], v8 offset0:54 offset1:249
	ds_read2_b32 v[10:11], v10 offset0:60 offset1:255
	;; [unrolled: 1-line block ×3, first 2 shown]
	ds_read_b32 v15, v85 offset:5408
.LBB0_23:
	s_or_b64 exec, exec, s[2:3]
	s_movk_i32 s2, 0x4f
	v_mul_lo_u16_sdwa v14, v97, s2 dst_sel:DWORD dst_unused:UNUSED_PAD src0_sel:BYTE_0 src1_sel:DWORD
	v_mul_lo_u16_sdwa v27, v36, s2 dst_sel:DWORD dst_unused:UNUSED_PAD src0_sel:BYTE_0 src1_sel:DWORD
	v_lshrrev_b16_e32 v94, 10, v14
	v_lshrrev_b16_e32 v96, 10, v27
	v_mul_lo_u16_e32 v14, 13, v94
	v_mul_lo_u16_e32 v27, 13, v96
	v_sub_u16_e32 v95, v97, v14
	v_mov_b32_e32 v14, 6
	v_sub_u16_e32 v110, v36, v27
	v_mul_u32_u24_sdwa v26, v95, v14 dst_sel:DWORD dst_unused:UNUSED_PAD src0_sel:BYTE_0 src1_sel:DWORD
	v_mul_u32_u24_sdwa v14, v110, v14 dst_sel:DWORD dst_unused:UNUSED_PAD src0_sel:BYTE_0 src1_sel:DWORD
	v_lshlrev_b32_e32 v26, 3, v26
	v_lshlrev_b32_e32 v14, 3, v14
	v_add_u32_e32 v37, 0xb6, v97
	s_movk_i32 s2, 0x4ec5
	global_load_dwordx4 v[60:63], v26, s[4:5]
	global_load_dwordx4 v[64:67], v26, s[4:5] offset:16
	global_load_dwordx4 v[68:71], v26, s[4:5] offset:32
	global_load_dwordx4 v[72:75], v14, s[4:5]
	global_load_dwordx4 v[76:79], v14, s[4:5] offset:32
	global_load_dwordx4 v[90:93], v14, s[4:5] offset:16
	v_mul_u32_u24_sdwa v14, v37, s2 dst_sel:DWORD dst_unused:UNUSED_PAD src0_sel:WORD_0 src1_sel:DWORD
	v_lshrrev_b32_e32 v14, 18, v14
	v_mul_lo_u16_e32 v14, 13, v14
	v_sub_u16_e32 v111, v37, v14
	v_mul_u32_u24_e32 v14, 6, v111
	v_lshlrev_b32_e32 v14, 3, v14
	global_load_dwordx4 v[98:101], v14, s[4:5]
	global_load_dwordx4 v[102:105], v14, s[4:5] offset:16
	global_load_dwordx4 v[106:109], v14, s[4:5] offset:32
	s_mov_b32 s8, 0x3f5ff5aa
	s_mov_b32 s9, 0x3f3bfb3b
	;; [unrolled: 1-line block ×4, first 2 shown]
	s_movk_i32 s2, 0x16c
	s_waitcnt lgkmcnt(0)
	s_barrier
	s_waitcnt vmcnt(8)
	v_mul_f32_e32 v40, v17, v63
	v_mul_f32_e32 v48, v51, v63
	s_waitcnt vmcnt(6)
	v_mul_f32_e32 v63, v23, v69
	v_mul_f32_e32 v53, v81, v69
	;; [unrolled: 3-line block ×4, first 2 shown]
	v_mul_f32_e32 v77, v38, v79
	s_waitcnt vmcnt(2)
	v_mul_f32_e32 v30, v35, v99
	v_mul_f32_e32 v44, v89, v79
	;; [unrolled: 1-line block ×3, first 2 shown]
	v_fmac_f32_e32 v30, v9, v98
	s_waitcnt vmcnt(1)
	v_mul_f32_e32 v9, v12, v105
	v_mul_f32_e32 v39, v7, v61
	;; [unrolled: 1-line block ×7, first 2 shown]
	v_fmac_f32_e32 v44, v38, v78
	v_fma_f32 v38, v46, v104, -v9
	s_waitcnt vmcnt(0)
	v_mul_f32_e32 v9, v13, v107
	v_mul_f32_e32 v61, v21, v67
	;; [unrolled: 1-line block ×11, first 2 shown]
	v_fma_f32 v55, v33, v60, -v39
	v_fmac_f32_e32 v45, v7, v60
	v_fma_f32 v51, v51, v62, -v40
	v_fma_f32 v60, v81, v68, -v63
	v_fmac_f32_e32 v53, v23, v68
	v_fma_f32 v23, v83, v70, -v65
	v_fmac_f32_e32 v14, v16, v72
	v_fma_f32 v16, v35, v98, -v79
	v_mul_f32_e32 v35, v43, v103
	v_fma_f32 v40, v47, v106, -v9
	v_mul_f32_e32 v9, v15, v109
	v_mul_f32_e32 v31, v42, v101
	v_fmac_f32_e32 v48, v17, v62
	v_fma_f32 v57, v57, v64, -v41
	v_fmac_f32_e32 v49, v19, v64
	v_fma_f32 v59, v59, v66, -v61
	v_fmac_f32_e32 v52, v21, v66
	v_fmac_f32_e32 v54, v25, v70
	v_fma_f32 v17, v42, v100, -v91
	v_fma_f32 v33, v43, v102, -v93
	v_fmac_f32_e32 v35, v11, v102
	v_mul_f32_e32 v39, v46, v105
	v_mul_f32_e32 v41, v47, v107
	v_fma_f32 v42, v87, v108, -v9
	v_mul_f32_e32 v43, v87, v109
	v_add_f32_e32 v9, v55, v23
	v_add_f32_e32 v11, v51, v60
	v_fmac_f32_e32 v29, v24, v76
	v_fmac_f32_e32 v31, v10, v100
	;; [unrolled: 1-line block ×5, first 2 shown]
	v_sub_f32_e32 v10, v45, v54
	v_sub_f32_e32 v12, v48, v53
	v_add_f32_e32 v13, v57, v59
	v_sub_f32_e32 v15, v52, v49
	v_add_f32_e32 v24, v11, v9
	v_sub_f32_e32 v25, v11, v9
	v_sub_f32_e32 v9, v9, v13
	;; [unrolled: 1-line block ×3, first 2 shown]
	v_add_f32_e32 v46, v15, v12
	v_sub_f32_e32 v47, v15, v12
	v_sub_f32_e32 v12, v12, v10
	v_add_f32_e32 v13, v13, v24
	v_fma_f32 v7, v50, v72, -v67
	v_sub_f32_e32 v15, v10, v15
	v_add_f32_e32 v10, v46, v10
	v_add_f32_e32 v24, v88, v13
	v_mul_f32_e32 v9, 0x3f4a47b2, v9
	v_mul_f32_e32 v46, 0x3d64c772, v11
	;; [unrolled: 1-line block ×4, first 2 shown]
	v_fmamk_f32 v13, v13, 0xbf955555, v24
	v_fma_f32 v46, v25, s9, -v46
	v_fma_f32 v25, v25, s12, -v9
	v_fmac_f32_e32 v9, 0x3d64c772, v11
	v_fma_f32 v11, v12, s8, -v47
	v_fmac_f32_e32 v47, 0x3eae86e6, v15
	v_fma_f32 v12, v15, s13, -v50
	v_fma_f32 v19, v56, v74, -v69
	v_fmac_f32_e32 v28, v22, v92
	v_fma_f32 v21, v82, v76, -v75
	v_fma_f32 v22, v89, v78, -v77
	v_add_f32_e32 v9, v9, v13
	v_add_f32_e32 v15, v46, v13
	;; [unrolled: 1-line block ×3, first 2 shown]
	v_fmac_f32_e32 v47, 0x3ee1c552, v10
	v_fmac_f32_e32 v12, 0x3ee1c552, v10
	;; [unrolled: 1-line block ×3, first 2 shown]
	v_fma_f32 v18, v58, v90, -v71
	v_fmac_f32_e32 v27, v20, v90
	v_fma_f32 v20, v80, v92, -v73
	v_fmac_f32_e32 v11, 0x3ee1c552, v10
	v_add_f32_e32 v10, v47, v9
	v_add_f32_e32 v25, v12, v13
	v_sub_f32_e32 v12, v13, v12
	v_sub_f32_e32 v9, v9, v47
	v_add_f32_e32 v13, v7, v22
	v_add_f32_e32 v47, v19, v21
	v_sub_f32_e32 v46, v15, v11
	v_add_f32_e32 v11, v11, v15
	v_sub_f32_e32 v15, v14, v44
	v_sub_f32_e32 v50, v26, v29
	v_add_f32_e32 v56, v18, v20
	v_sub_f32_e32 v58, v28, v27
	v_add_f32_e32 v61, v47, v13
	v_sub_f32_e32 v62, v47, v13
	v_sub_f32_e32 v13, v13, v56
	;; [unrolled: 1-line block ×3, first 2 shown]
	v_add_f32_e32 v63, v58, v50
	v_sub_f32_e32 v64, v58, v50
	v_sub_f32_e32 v50, v50, v15
	v_add_f32_e32 v56, v56, v61
	v_sub_f32_e32 v58, v15, v58
	v_add_f32_e32 v15, v63, v15
	v_add_f32_e32 v32, v32, v56
	v_mul_f32_e32 v13, 0x3f4a47b2, v13
	v_mul_f32_e32 v61, 0x3d64c772, v47
	;; [unrolled: 1-line block ×4, first 2 shown]
	v_fmamk_f32 v56, v56, 0xbf955555, v32
	v_fma_f32 v61, v62, s9, -v61
	v_fma_f32 v62, v62, s12, -v13
	v_fmac_f32_e32 v13, 0x3d64c772, v47
	v_fma_f32 v47, v50, s8, -v63
	v_fma_f32 v50, v58, s13, -v64
	v_fmac_f32_e32 v63, 0x3eae86e6, v58
	v_add_f32_e32 v13, v13, v56
	v_add_f32_e32 v58, v61, v56
	;; [unrolled: 1-line block ×3, first 2 shown]
	v_fmac_f32_e32 v50, 0x3ee1c552, v15
	v_fmac_f32_e32 v63, 0x3ee1c552, v15
	;; [unrolled: 1-line block ×3, first 2 shown]
	v_add_f32_e32 v61, v50, v56
	v_sub_f32_e32 v56, v56, v50
	v_mov_b32_e32 v50, 2
	v_add_f32_e32 v15, v63, v13
	v_sub_f32_e32 v62, v58, v47
	v_add_f32_e32 v58, v47, v58
	v_sub_f32_e32 v13, v13, v63
	v_mad_u32_u24 v47, v94, s2, 0
	v_lshlrev_b32_sdwa v63, v50, v95 dst_sel:DWORD dst_unused:UNUSED_PAD src0_sel:DWORD src1_sel:BYTE_0
	v_add3_u32 v47, v47, v63, v86
	ds_write2_b32 v47, v24, v10 offset1:13
	ds_write2_b32 v47, v25, v46 offset0:26 offset1:39
	ds_write2_b32 v47, v11, v12 offset0:52 offset1:65
	ds_write_b32 v47, v9 offset:312
	v_mad_u32_u24 v9, v96, s2, 0
	v_lshlrev_b32_sdwa v10, v50, v110 dst_sel:DWORD dst_unused:UNUSED_PAD src0_sel:DWORD src1_sel:BYTE_0
	v_add3_u32 v50, v9, v10, v86
	v_lshlrev_b32_e32 v46, 2, v111
	ds_write2_b32 v50, v32, v15 offset1:13
	ds_write2_b32 v50, v61, v62 offset0:26 offset1:39
	ds_write2_b32 v50, v58, v56 offset0:52 offset1:65
	ds_write_b32 v50, v13 offset:312
	s_and_saveexec_b64 s[2:3], s[0:1]
	s_cbranch_execz .LBB0_25
; %bb.24:
	v_add_f32_e32 v9, v16, v42
	v_add_f32_e32 v12, v17, v40
	;; [unrolled: 1-line block ×4, first 2 shown]
	v_sub_f32_e32 v32, v39, v35
	v_sub_f32_e32 v56, v31, v41
	;; [unrolled: 1-line block ×4, first 2 shown]
	v_add_f32_e32 v10, v10, v24
	v_sub_f32_e32 v25, v30, v43
	v_sub_f32_e32 v58, v32, v56
	v_mul_f32_e32 v11, 0x3f4a47b2, v11
	v_mul_f32_e32 v15, 0x3d64c772, v13
	v_add_f32_e32 v24, v34, v10
	v_sub_f32_e32 v34, v25, v32
	v_mul_f32_e32 v58, 0xbf08b237, v58
	v_add_f32_e32 v32, v32, v56
	v_sub_f32_e32 v9, v12, v9
	v_sub_f32_e32 v12, v56, v25
	v_fmamk_f32 v13, v13, 0x3d64c772, v11
	v_fmamk_f32 v10, v10, 0xbf955555, v24
	;; [unrolled: 1-line block ×3, first 2 shown]
	v_add_f32_e32 v32, v32, v25
	v_fma_f32 v11, v9, s12, -v11
	v_mul_f32_e32 v25, 0x3f5ff5aa, v12
	v_fma_f32 v12, v12, s8, -v58
	v_fma_f32 v9, v9, s9, -v15
	v_add_f32_e32 v13, v13, v10
	v_fmac_f32_e32 v61, 0x3ee1c552, v32
	v_fmac_f32_e32 v12, 0x3ee1c552, v32
	v_add_f32_e32 v9, v9, v10
	v_sub_f32_e32 v62, v13, v61
	v_add_f32_e32 v11, v11, v10
	v_fma_f32 v25, v34, s13, -v25
	v_add_f32_e32 v10, v12, v9
	v_sub_f32_e32 v9, v9, v12
	v_add_f32_e32 v12, v61, v13
	v_add3_u32 v13, 0, v46, v86
	v_fmac_f32_e32 v25, 0x3ee1c552, v32
	v_add_u32_e32 v15, 0x1200, v13
	v_sub_f32_e32 v34, v11, v25
	v_add_f32_e32 v11, v25, v11
	ds_write2_b32 v15, v24, v12 offset0:122 offset1:135
	v_add_u32_e32 v12, 0x1400, v13
	ds_write2_b32 v12, v11, v9 offset0:20 offset1:33
	ds_write2_b32 v12, v10, v34 offset0:46 offset1:59
	ds_write_b32 v13, v62 offset:5408
.LBB0_25:
	s_or_b64 exec, exec, s[2:3]
	v_add_f32_e32 v9, v45, v54
	v_add_f32_e32 v11, v48, v53
	v_sub_f32_e32 v10, v55, v23
	v_sub_f32_e32 v12, v51, v60
	v_add_f32_e32 v13, v49, v52
	v_sub_f32_e32 v15, v59, v57
	v_add_f32_e32 v23, v11, v9
	v_sub_f32_e32 v24, v11, v9
	v_sub_f32_e32 v9, v9, v13
	;; [unrolled: 1-line block ×3, first 2 shown]
	v_add_f32_e32 v25, v15, v12
	v_sub_f32_e32 v32, v15, v12
	v_add_f32_e32 v13, v13, v23
	v_sub_f32_e32 v15, v10, v15
	v_sub_f32_e32 v12, v12, v10
	v_add_f32_e32 v10, v25, v10
	v_add_f32_e32 v1, v1, v13
	v_mul_f32_e32 v9, 0x3f4a47b2, v9
	v_mul_f32_e32 v23, 0x3d64c772, v11
	;; [unrolled: 1-line block ×4, first 2 shown]
	v_fmamk_f32 v13, v13, 0xbf955555, v1
	v_fma_f32 v23, v24, s9, -v23
	v_fma_f32 v24, v24, s12, -v9
	v_fmac_f32_e32 v9, 0x3d64c772, v11
	v_fma_f32 v11, v12, s8, -v25
	v_fmac_f32_e32 v25, 0x3eae86e6, v15
	v_fma_f32 v12, v15, s13, -v32
	v_add_f32_e32 v9, v9, v13
	v_fmac_f32_e32 v25, 0x3ee1c552, v10
	v_add_f32_e32 v15, v23, v13
	v_add_f32_e32 v13, v24, v13
	v_fmac_f32_e32 v11, 0x3ee1c552, v10
	v_fmac_f32_e32 v12, 0x3ee1c552, v10
	v_sub_f32_e32 v34, v9, v25
	v_add_f32_e32 v52, v25, v9
	v_add_f32_e32 v9, v14, v44
	;; [unrolled: 1-line block ×3, first 2 shown]
	v_sub_f32_e32 v45, v13, v12
	v_add_f32_e32 v48, v11, v15
	v_sub_f32_e32 v49, v15, v11
	v_add_f32_e32 v51, v12, v13
	;; [unrolled: 2-line block ×4, first 2 shown]
	v_sub_f32_e32 v7, v7, v22
	v_sub_f32_e32 v15, v10, v9
	;; [unrolled: 1-line block ×5, first 2 shown]
	v_add_f32_e32 v12, v12, v14
	v_add_f32_e32 v18, v13, v11
	v_sub_f32_e32 v11, v11, v7
	v_add_f32_e32 v44, v6, v12
	v_mul_f32_e32 v6, 0x3f4a47b2, v9
	v_mul_f32_e32 v9, 0x3d64c772, v10
	;; [unrolled: 1-line block ×3, first 2 shown]
	v_sub_f32_e32 v13, v7, v13
	v_add_f32_e32 v7, v18, v7
	v_fmamk_f32 v12, v12, 0xbf955555, v44
	v_fma_f32 v9, v15, s9, -v9
	v_fma_f32 v15, v15, s12, -v6
	v_fmac_f32_e32 v6, 0x3d64c772, v10
	v_fma_f32 v10, v11, s8, -v14
	v_mul_f32_e32 v18, 0x3f5ff5aa, v11
	v_add_f32_e32 v9, v9, v12
	v_fmac_f32_e32 v10, 0x3ee1c552, v7
	v_fmac_f32_e32 v14, 0x3eae86e6, v13
	v_fma_f32 v11, v13, s13, -v18
	v_add_f32_e32 v55, v10, v9
	v_sub_f32_e32 v56, v9, v10
	v_add3_u32 v9, 0, v0, v86
	v_add_f32_e32 v6, v6, v12
	v_add_f32_e32 v12, v15, v12
	v_fmac_f32_e32 v14, 0x3ee1c552, v7
	v_fmac_f32_e32 v11, 0x3ee1c552, v7
	v_add_u32_e32 v22, 0x200, v9
	v_add_u32_e32 v23, 0x800, v9
	;; [unrolled: 1-line block ×6, first 2 shown]
	v_sub_f32_e32 v53, v6, v14
	v_sub_f32_e32 v54, v12, v11
	v_add_f32_e32 v57, v11, v12
	v_add_f32_e32 v58, v14, v6
	s_waitcnt lgkmcnt(0)
	s_barrier
	ds_read2_b32 v[6:7], v22 offset0:54 offset1:145
	ds_read2_b32 v[18:19], v23 offset0:34 offset1:125
	;; [unrolled: 1-line block ×6, first 2 shown]
	ds_read_b32 v29, v84
	ds_read_b32 v27, v85 offset:364
	ds_read_b32 v32, v9 offset:5096
	s_waitcnt lgkmcnt(0)
	s_barrier
	ds_write2_b32 v47, v1, v34 offset1:13
	ds_write2_b32 v47, v45, v48 offset0:26 offset1:39
	ds_write2_b32 v47, v49, v51 offset0:52 offset1:65
	ds_write_b32 v47, v52 offset:312
	ds_write2_b32 v50, v44, v53 offset1:13
	ds_write2_b32 v50, v54, v55 offset0:26 offset1:39
	ds_write2_b32 v50, v56, v57 offset0:52 offset1:65
	ds_write_b32 v50, v58 offset:312
	s_and_saveexec_b64 s[2:3], s[0:1]
	s_cbranch_execz .LBB0_27
; %bb.26:
	v_add_f32_e32 v1, v30, v43
	v_add_f32_e32 v30, v31, v41
	;; [unrolled: 1-line block ×3, first 2 shown]
	v_sub_f32_e32 v17, v17, v40
	v_sub_f32_e32 v33, v38, v33
	v_add_f32_e32 v34, v30, v1
	v_sub_f32_e32 v35, v30, v1
	v_sub_f32_e32 v30, v31, v30
	;; [unrolled: 1-line block ×4, first 2 shown]
	v_add_f32_e32 v38, v33, v17
	v_sub_f32_e32 v39, v33, v17
	v_add_f32_e32 v31, v31, v34
	v_mul_f32_e32 v34, 0x3d64c772, v30
	s_mov_b32 s1, 0x3f3bfb3b
	v_sub_f32_e32 v33, v16, v33
	v_sub_f32_e32 v17, v17, v16
	v_add_f32_e32 v16, v38, v16
	v_add_f32_e32 v8, v8, v31
	v_mul_f32_e32 v1, 0x3f4a47b2, v1
	v_mul_f32_e32 v38, 0xbf08b237, v39
	s_mov_b32 s0, 0x3f5ff5aa
	v_fma_f32 v34, v35, s1, -v34
	s_mov_b32 s1, 0xbf3bfb3b
	v_mul_f32_e32 v39, 0x3f5ff5aa, v17
	v_fmamk_f32 v31, v31, 0xbf955555, v8
	v_fma_f32 v35, v35, s1, -v1
	v_fmac_f32_e32 v1, 0x3d64c772, v30
	v_fmamk_f32 v30, v33, 0x3eae86e6, v38
	v_fma_f32 v17, v17, s0, -v38
	s_mov_b32 s0, 0xbeae86e6
	v_fma_f32 v33, v33, s0, -v39
	v_add_f32_e32 v1, v1, v31
	v_fmac_f32_e32 v30, 0x3ee1c552, v16
	v_add_f32_e32 v34, v34, v31
	v_add_f32_e32 v31, v35, v31
	v_fmac_f32_e32 v17, 0x3ee1c552, v16
	v_fmac_f32_e32 v33, 0x3ee1c552, v16
	v_sub_f32_e32 v16, v1, v30
	v_add_f32_e32 v1, v30, v1
	v_add3_u32 v30, 0, v46, v86
	v_sub_f32_e32 v35, v31, v33
	v_add_f32_e32 v31, v33, v31
	v_add_u32_e32 v33, 0x1200, v30
	v_add_f32_e32 v38, v17, v34
	ds_write2_b32 v33, v8, v16 offset0:122 offset1:135
	v_add_u32_e32 v8, 0x1400, v30
	v_sub_f32_e32 v17, v34, v17
	ds_write2_b32 v8, v35, v38 offset0:20 offset1:33
	ds_write2_b32 v8, v17, v31 offset0:46 offset1:59
	ds_write_b32 v30, v1 offset:5408
.LBB0_27:
	s_or_b64 exec, exec, s[2:3]
	v_mov_b32_e32 v1, 0
	s_movk_i32 s0, 0x6817
	v_lshl_add_u64 v[16:17], v[0:1], 3, s[4:5]
	v_mul_u32_u24_sdwa v0, v37, s0 dst_sel:DWORD dst_unused:UNUSED_PAD src0_sel:WORD_0 src1_sel:DWORD
	v_sub_u16_sdwa v8, v37, v0 dst_sel:DWORD dst_unused:UNUSED_PAD src0_sel:DWORD src1_sel:WORD_1
	v_lshrrev_b16_e32 v8, 1, v8
	v_add_u16_sdwa v0, v8, v0 dst_sel:DWORD dst_unused:UNUSED_PAD src0_sel:DWORD src1_sel:WORD_1
	v_lshrrev_b16_e32 v0, 6, v0
	s_waitcnt lgkmcnt(0)
	s_barrier
	global_load_dwordx4 v[38:41], v[16:17], off offset:624
	global_load_dwordx4 v[42:45], v[16:17], off offset:640
	v_mul_lo_u16_e32 v0, 0x5b, v0
	v_sub_u16_e32 v0, v37, v0
	v_lshlrev_b32_e32 v8, 5, v0
	global_load_dwordx4 v[46:49], v8, s[4:5] offset:624
	global_load_dwordx4 v[50:53], v8, s[4:5] offset:640
	ds_read2_b32 v[16:17], v22 offset0:54 offset1:145
	ds_read2_b32 v[30:31], v23 offset0:34 offset1:125
	;; [unrolled: 1-line block ×6, first 2 shown]
	ds_read_b32 v33, v84
	ds_read_b32 v60, v85 offset:364
	ds_read_b32 v8, v9 offset:5096
	v_lshlrev_b32_e32 v0, 2, v0
	v_add3_u32 v0, 0, v0, v86
	s_waitcnt lgkmcnt(0)
	s_barrier
	s_waitcnt vmcnt(3)
	v_mul_f32_e32 v62, v7, v39
	v_mul_f32_e32 v63, v30, v41
	s_waitcnt vmcnt(2)
	v_mul_f32_e32 v65, v35, v43
	v_mul_f32_e32 v61, v17, v39
	;; [unrolled: 1-line block ×6, first 2 shown]
	v_fmac_f32_e32 v62, v17, v38
	v_fma_f32 v17, v18, v40, -v63
	v_fma_f32 v11, v11, v42, -v65
	v_mul_f32_e32 v69, v56, v39
	v_mul_f32_e32 v39, v14, v39
	;; [unrolled: 1-line block ×6, first 2 shown]
	v_fma_f32 v7, v7, v38, -v61
	v_fmac_f32_e32 v64, v30, v40
	v_fma_f32 v18, v20, v44, -v67
	v_fmac_f32_e32 v68, v54, v44
	v_add_f32_e32 v30, v17, v11
	v_fmac_f32_e32 v66, v35, v42
	v_fma_f32 v14, v14, v38, -v69
	v_fmac_f32_e32 v39, v56, v38
	v_fma_f32 v19, v19, v40, -v70
	v_fmac_f32_e32 v41, v31, v40
	v_fmac_f32_e32 v45, v55, v44
	v_sub_f32_e32 v31, v62, v68
	v_sub_f32_e32 v38, v7, v17
	;; [unrolled: 1-line block ×3, first 2 shown]
	v_fma_f32 v30, -0.5, v30, v29
	s_waitcnt vmcnt(0)
	v_mul_f32_e32 v55, v8, v53
	v_mul_f32_e32 v53, v32, v53
	;; [unrolled: 1-line block ×4, first 2 shown]
	v_sub_f32_e32 v35, v64, v66
	v_add_f32_e32 v38, v38, v40
	v_fmamk_f32 v40, v31, 0x3f737871, v30
	v_fmac_f32_e32 v30, 0xbf737871, v31
	v_fmac_f32_e32 v53, v8, v52
	v_add_f32_e32 v8, v7, v18
	v_fma_f32 v12, v12, v42, -v71
	v_fmac_f32_e32 v43, v58, v42
	v_fma_f32 v20, v21, v44, -v72
	v_add_f32_e32 v21, v29, v7
	v_fmac_f32_e32 v40, 0x3f167918, v35
	v_mul_f32_e32 v42, v57, v47
	v_mul_f32_e32 v44, v15, v47
	;; [unrolled: 1-line block ×4, first 2 shown]
	v_fmac_f32_e32 v30, 0xbf167918, v35
	v_fmac_f32_e32 v29, -0.5, v8
	v_fmac_f32_e32 v40, 0x3e9e377a, v38
	v_fmac_f32_e32 v49, v34, v48
	;; [unrolled: 1-line block ×3, first 2 shown]
	v_fmamk_f32 v8, v35, 0xbf737871, v29
	v_sub_f32_e32 v34, v17, v7
	v_sub_f32_e32 v38, v11, v18
	v_fmac_f32_e32 v29, 0x3f737871, v35
	v_fmac_f32_e32 v8, 0x3f167918, v31
	v_add_f32_e32 v34, v34, v38
	v_fmac_f32_e32 v29, 0xbf167918, v31
	v_add_f32_e32 v21, v21, v17
	v_fmac_f32_e32 v8, 0x3e9e377a, v34
	v_fmac_f32_e32 v29, 0x3e9e377a, v34
	v_add_f32_e32 v34, v64, v66
	v_add_f32_e32 v21, v21, v11
	v_fma_f32 v35, -0.5, v34, v33
	v_sub_f32_e32 v7, v7, v18
	v_add_f32_e32 v21, v21, v18
	v_fmamk_f32 v38, v7, 0xbf737871, v35
	v_sub_f32_e32 v11, v17, v11
	v_sub_f32_e32 v17, v62, v64
	;; [unrolled: 1-line block ×3, first 2 shown]
	v_fmac_f32_e32 v35, 0x3f737871, v7
	v_fmac_f32_e32 v38, 0xbf167918, v11
	v_add_f32_e32 v17, v17, v18
	v_fmac_f32_e32 v35, 0x3f167918, v11
	v_fmac_f32_e32 v38, 0x3e9e377a, v17
	;; [unrolled: 1-line block ×3, first 2 shown]
	v_add_f32_e32 v17, v62, v68
	v_add_f32_e32 v31, v33, v62
	v_fmac_f32_e32 v33, -0.5, v17
	v_fmamk_f32 v17, v11, 0x3f737871, v33
	v_sub_f32_e32 v18, v64, v62
	v_sub_f32_e32 v34, v66, v68
	v_fmac_f32_e32 v33, 0xbf737871, v11
	v_fmac_f32_e32 v17, 0xbf167918, v7
	v_add_f32_e32 v18, v18, v34
	v_fmac_f32_e32 v33, 0x3f167918, v7
	v_add_f32_e32 v11, v19, v12
	v_fmac_f32_e32 v17, 0x3e9e377a, v18
	v_fmac_f32_e32 v33, 0x3e9e377a, v18
	v_fma_f32 v11, -0.5, v11, v27
	v_sub_f32_e32 v18, v39, v45
	v_fma_f32 v15, v15, v46, -v42
	v_fmac_f32_e32 v44, v57, v46
	v_fma_f32 v10, v10, v48, -v47
	v_fmamk_f32 v34, v18, 0x3f737871, v11
	v_sub_f32_e32 v42, v41, v43
	v_sub_f32_e32 v46, v14, v19
	;; [unrolled: 1-line block ×3, first 2 shown]
	v_fmac_f32_e32 v11, 0xbf737871, v18
	v_fmac_f32_e32 v34, 0x3f167918, v42
	v_add_f32_e32 v46, v46, v47
	v_fmac_f32_e32 v11, 0xbf167918, v42
	v_fmac_f32_e32 v34, 0x3e9e377a, v46
	;; [unrolled: 1-line block ×3, first 2 shown]
	v_add_f32_e32 v46, v14, v20
	v_add_f32_e32 v7, v27, v14
	v_fmac_f32_e32 v27, -0.5, v46
	v_fmamk_f32 v46, v42, 0xbf737871, v27
	v_fmac_f32_e32 v27, 0x3f737871, v42
	v_fmac_f32_e32 v46, 0x3f167918, v18
	;; [unrolled: 1-line block ×3, first 2 shown]
	v_add_f32_e32 v18, v60, v39
	v_add_f32_e32 v18, v18, v41
	v_sub_f32_e32 v47, v19, v14
	v_sub_f32_e32 v48, v12, v20
	v_add_f32_e32 v18, v18, v43
	v_add_f32_e32 v7, v7, v19
	;; [unrolled: 1-line block ×6, first 2 shown]
	v_fmac_f32_e32 v46, 0x3e9e377a, v47
	v_fmac_f32_e32 v27, 0x3e9e377a, v47
	v_fma_f32 v47, -0.5, v18, v60
	v_sub_f32_e32 v14, v14, v20
	v_add_f32_e32 v7, v7, v20
	v_fmamk_f32 v20, v14, 0xbf737871, v47
	v_sub_f32_e32 v12, v19, v12
	v_sub_f32_e32 v18, v39, v41
	v_sub_f32_e32 v19, v45, v43
	v_fmac_f32_e32 v47, 0x3f737871, v14
	v_fmac_f32_e32 v20, 0xbf167918, v12
	v_add_f32_e32 v18, v18, v19
	v_fmac_f32_e32 v47, 0x3f167918, v12
	v_fmac_f32_e32 v20, 0x3e9e377a, v18
	;; [unrolled: 1-line block ×3, first 2 shown]
	v_add_f32_e32 v18, v39, v45
	v_mul_f32_e32 v54, v59, v51
	v_fmac_f32_e32 v60, -0.5, v18
	v_mul_f32_e32 v51, v13, v51
	v_fma_f32 v13, v13, v50, -v54
	v_fmamk_f32 v48, v12, 0x3f737871, v60
	v_sub_f32_e32 v18, v41, v39
	v_sub_f32_e32 v19, v43, v45
	v_fmac_f32_e32 v60, 0xbf737871, v12
	v_fmac_f32_e32 v48, 0xbf167918, v14
	v_add_f32_e32 v18, v18, v19
	v_fmac_f32_e32 v60, 0x3f167918, v14
	v_add_f32_e32 v14, v10, v13
	v_fmac_f32_e32 v51, v59, v50
	v_fma_f32 v32, v32, v52, -v55
	v_fmac_f32_e32 v48, 0x3e9e377a, v18
	v_fmac_f32_e32 v60, 0x3e9e377a, v18
	v_fma_f32 v14, -0.5, v14, v6
	v_sub_f32_e32 v18, v44, v53
	v_fmamk_f32 v19, v18, 0x3f737871, v14
	v_sub_f32_e32 v39, v49, v51
	v_sub_f32_e32 v41, v15, v10
	;; [unrolled: 1-line block ×3, first 2 shown]
	v_fmac_f32_e32 v14, 0xbf737871, v18
	v_fmac_f32_e32 v19, 0x3f167918, v39
	v_add_f32_e32 v41, v41, v43
	v_fmac_f32_e32 v14, 0xbf167918, v39
	v_fmac_f32_e32 v19, 0x3e9e377a, v41
	;; [unrolled: 1-line block ×3, first 2 shown]
	v_add_f32_e32 v41, v15, v32
	v_add_f32_e32 v12, v6, v15
	v_fmac_f32_e32 v6, -0.5, v41
	v_fmamk_f32 v41, v39, 0xbf737871, v6
	v_fmac_f32_e32 v6, 0x3f737871, v39
	v_fmac_f32_e32 v41, 0x3f167918, v18
	;; [unrolled: 1-line block ×3, first 2 shown]
	v_add_f32_e32 v18, v16, v44
	v_add_f32_e32 v18, v18, v49
	v_sub_f32_e32 v43, v10, v15
	v_sub_f32_e32 v45, v13, v32
	v_add_f32_e32 v18, v18, v51
	v_add_f32_e32 v12, v12, v10
	;; [unrolled: 1-line block ×6, first 2 shown]
	v_fmac_f32_e32 v41, 0x3e9e377a, v43
	v_fmac_f32_e32 v6, 0x3e9e377a, v43
	v_fma_f32 v43, -0.5, v18, v16
	v_sub_f32_e32 v15, v15, v32
	v_add_f32_e32 v12, v12, v32
	v_fmamk_f32 v32, v15, 0xbf737871, v43
	v_sub_f32_e32 v10, v10, v13
	v_sub_f32_e32 v13, v44, v49
	;; [unrolled: 1-line block ×3, first 2 shown]
	v_fmac_f32_e32 v43, 0x3f737871, v15
	v_fmac_f32_e32 v32, 0xbf167918, v10
	v_add_f32_e32 v13, v13, v18
	v_fmac_f32_e32 v43, 0x3f167918, v10
	v_fmac_f32_e32 v32, 0x3e9e377a, v13
	;; [unrolled: 1-line block ×3, first 2 shown]
	v_add_f32_e32 v13, v44, v53
	v_fmac_f32_e32 v16, -0.5, v13
	v_fmamk_f32 v45, v10, 0x3f737871, v16
	v_sub_f32_e32 v13, v49, v44
	v_sub_f32_e32 v18, v51, v53
	v_fmac_f32_e32 v16, 0xbf737871, v10
	v_fmac_f32_e32 v45, 0xbf167918, v15
	v_add_f32_e32 v13, v13, v18
	v_fmac_f32_e32 v16, 0x3f167918, v15
	ds_write2_b32 v9, v21, v40 offset1:91
	ds_write2_b32 v22, v8, v29 offset0:54 offset1:145
	ds_write2_b32 v25, v30, v7 offset0:108 offset1:199
	;; [unrolled: 1-line block ×4, first 2 shown]
	v_add_u32_e32 v21, 0xc00, v0
	v_add_u32_e32 v29, 0x1000, v0
	v_fmac_f32_e32 v45, 0x3e9e377a, v13
	v_fmac_f32_e32 v16, 0x3e9e377a, v13
	ds_write2_b32 v21, v12, v19 offset0:142 offset1:233
	ds_write2_b32 v29, v41, v6 offset0:68 offset1:159
	ds_write_b32 v0, v14 offset:5096
	s_waitcnt lgkmcnt(0)
	s_barrier
	ds_read2_b32 v[6:7], v25 offset0:108 offset1:199
	ds_read2_b32 v[26:27], v26 offset0:142 offset1:233
	ds_read2_b32 v[18:19], v23 offset0:34 offset1:125
	ds_read2_b32 v[12:13], v22 offset0:54 offset1:145
	ds_read2_b32 v[14:15], v28 offset0:68 offset1:159
	ds_read2_b32 v[10:11], v24 offset0:88 offset1:179
	ds_read_b32 v34, v84
	ds_read_b32 v28, v85 offset:364
	ds_read_b32 v8, v9 offset:5096
	v_add_f32_e32 v31, v31, v64
	v_add_f32_e32 v31, v31, v66
	;; [unrolled: 1-line block ×3, first 2 shown]
	s_waitcnt lgkmcnt(0)
	s_barrier
	ds_write2_b32 v9, v31, v38 offset1:91
	ds_write2_b32 v22, v17, v33 offset0:54 offset1:145
	ds_write2_b32 v25, v35, v42 offset0:108 offset1:199
	;; [unrolled: 1-line block ×6, first 2 shown]
	ds_write_b32 v0, v43 offset:5096
	s_waitcnt lgkmcnt(0)
	s_barrier
	s_and_saveexec_b64 s[0:1], vcc
	s_cbranch_execz .LBB0_29
; %bb.28:
	v_lshlrev_b32_e32 v32, 1, v97
	v_mov_b32_e32 v33, v1
	v_lshl_add_u64 v[16:17], v[32:33], 3, s[4:5]
	global_load_dwordx4 v[38:41], v[16:17], off offset:3536
	v_mul_lo_u32 v0, s7, v4
	v_mul_lo_u32 v5, s6, v5
	v_mad_u64_u32 v[42:43], s[0:1], s6, v4, 0
	v_add_u32_e32 v16, 0xa00, v9
	v_add_u32_e32 v20, 0x400, v9
	v_add_u32_e32 v21, 0x1000, v9
	v_add_u32_e32 v24, 0x200, v9
	v_add_u32_e32 v25, 0x800, v9
	v_add3_u32 v43, v43, v5, v0
	v_add_u32_e32 v0, 0x2d8, v32
	v_add_u32_e32 v33, 0xc00, v9
	ds_read_b32 v4, v9 offset:5096
	ds_read_b32 v29, v85 offset:364
	ds_read_b32 v35, v84
	ds_read2_b32 v[16:17], v16 offset0:88 offset1:179
	ds_read2_b32 v[50:51], v20 offset0:108 offset1:199
	;; [unrolled: 1-line block ×6, first 2 shown]
	v_lshl_add_u64 v[24:25], v[0:1], 3, s[4:5]
	v_add_u32_e32 v0, 0x222, v32
	v_lshl_add_u64 v[32:33], v[0:1], 3, s[4:5]
	v_lshlrev_b32_e32 v0, 1, v37
	v_lshl_add_u64 v[54:55], v[0:1], 3, s[4:5]
	v_lshlrev_b32_e32 v0, 1, v36
	v_lshl_add_u64 v[42:43], v[42:43], 3, s[10:11]
	v_lshl_add_u64 v[0:1], v[0:1], 3, s[4:5]
	;; [unrolled: 1-line block ×3, first 2 shown]
	global_load_dwordx4 v[42:45], v[0:1], off offset:3536
	s_mov_b32 s1, 0x20120121
	v_mul_hi_u32 v5, v97, s1
	v_mov_b32_e32 v46, v7
	v_mov_b32_e32 v48, v7
	v_sub_u32_e32 v7, v97, v5
	v_lshrrev_b32_e32 v7, 1, v7
	v_add_u32_e32 v5, v7, v5
	v_lshrrev_b32_e32 v5, 8, v5
	v_mul_u32_u24_e32 v5, 0x1c7, v5
	v_sub_u32_e32 v5, v97, v5
	v_mad_u64_u32 v[0:1], s[2:3], s16, v5, 0
	v_add_u32_e32 v7, 0x1c7, v5
	v_add_u32_e32 v9, 0x38e, v5
	v_mov_b32_e32 v56, v1
	v_mad_u64_u32 v[58:59], s[2:3], s16, v7, 0
	v_mad_u64_u32 v[60:61], s[2:3], s16, v9, 0
	;; [unrolled: 1-line block ×3, first 2 shown]
	v_mov_b32_e32 v62, v59
	v_mov_b32_e32 v64, v61
	;; [unrolled: 1-line block ×3, first 2 shown]
	v_mad_u64_u32 v[56:57], s[2:3], s17, v7, v[62:63]
	v_mad_u64_u32 v[62:63], s[2:3], s17, v9, v[64:65]
	s_waitcnt lgkmcnt(4)
	v_mov_b32_e32 v36, v51
	v_mov_b32_e32 v59, v56
	v_mov_b32_e32 v61, v62
	v_lshl_add_u64 v[56:57], v[58:59], 3, v[2:3]
	v_lshl_add_u64 v[58:59], v[60:61], 3, v[2:3]
	s_mov_b32 s0, 0x3f5db3d7
	v_lshl_add_u64 v[0:1], v[0:1], 3, v[2:3]
	s_movk_i32 s2, 0x555
	s_waitcnt vmcnt(1)
	v_pk_mul_f32 v[36:37], v[38:39], v[36:37] op_sel_hi:[1,0]
	s_waitcnt lgkmcnt(0)
	v_pk_mul_f32 v[60:61], v[40:41], v[52:53] op_sel_hi:[1,0]
	v_pk_fma_f32 v[46:47], v[46:47], v[38:39], v[36:37] op_sel:[0,0,1] op_sel_hi:[1,1,0] neg_lo:[0,0,1] neg_hi:[0,0,1]
	v_pk_fma_f32 v[36:37], v[48:49], v[38:39], v[36:37] op_sel:[0,0,1] op_sel_hi:[0,1,0]
	v_pk_fma_f32 v[38:39], v[26:27], v[40:41], v[60:61] op_sel:[0,0,1] op_sel_hi:[1,1,0] neg_lo:[0,0,1] neg_hi:[0,0,1]
	v_pk_fma_f32 v[40:41], v[26:27], v[40:41], v[60:61] op_sel:[0,0,1] op_sel_hi:[0,1,0]
	v_mov_b32_e32 v47, v37
	v_mov_b32_e32 v39, v41
	v_pk_add_f32 v[36:37], v[46:47], v[38:39]
	v_pk_add_f32 v[40:41], v[46:47], v[38:39] neg_lo:[0,1] neg_hi:[0,1]
	v_pk_add_f32 v[46:47], v[34:35], v[46:47]
	v_pk_fma_f32 v[34:35], v[36:37], 0.5, v[34:35] op_sel_hi:[1,0,1] neg_lo:[1,0,0] neg_hi:[1,0,0]
	v_pk_mul_f32 v[36:37], v[40:41], s[0:1] op_sel_hi:[1,0]
	v_pk_add_f32 v[38:39], v[46:47], v[38:39]
	v_pk_add_f32 v[40:41], v[34:35], v[36:37] op_sel:[0,1] op_sel_hi:[1,0] neg_lo:[0,1] neg_hi:[0,1]
	v_pk_add_f32 v[34:35], v[34:35], v[36:37] op_sel:[0,1] op_sel_hi:[1,0]
	global_store_dwordx2 v[0:1], v[38:39], off
	v_mov_b32_e32 v0, v34
	v_mov_b32_e32 v1, v41
	;; [unrolled: 1-line block ×3, first 2 shown]
	global_load_dwordx4 v[34:37], v[54:55], off offset:3536
	s_nop 0
	global_store_dwordx2 v[56:57], v[0:1], off
	v_add_u32_e32 v0, 0x5b, v97
	v_mul_hi_u32 v1, v0, s1
	v_sub_u32_e32 v5, v0, v1
	v_lshrrev_b32_e32 v5, 1, v5
	v_add_u32_e32 v1, v5, v1
	v_lshrrev_b32_e32 v1, 8, v1
	v_mul_u32_u24_e32 v5, 0x1c7, v1
	v_sub_u32_e32 v0, v0, v5
	v_mad_u32_u24 v5, v1, s2, v0
	v_mad_u64_u32 v[0:1], s[4:5], s16, v5, 0
	v_mov_b32_e32 v26, v1
	v_mad_u64_u32 v[38:39], s[4:5], s17, v5, v[26:27]
	v_add_u32_e32 v7, 0x1c7, v5
	v_mov_b32_e32 v1, v38
	v_mad_u64_u32 v[38:39], s[4:5], s16, v7, 0
	v_mov_b32_e32 v26, v39
	global_store_dwordx2 v[58:59], v[40:41], off
	v_mad_u64_u32 v[40:41], s[4:5], s17, v7, v[26:27]
	v_add_u32_e32 v5, 0x38e, v5
	v_mov_b32_e32 v39, v40
	v_mad_u64_u32 v[40:41], s[4:5], s16, v5, 0
	v_mov_b32_e32 v26, v41
	v_mad_u64_u32 v[46:47], s[4:5], s17, v5, v[26:27]
	v_mov_b32_e32 v41, v46
	s_waitcnt vmcnt(4)
	v_pk_mul_f32 v[46:47], v[42:43], v[30:31] op_sel_hi:[1,0]
	v_mov_b32_e32 v26, v27
	v_pk_fma_f32 v[48:49], v[18:19], v[42:43], v[46:47] op_sel:[0,0,1] op_sel_hi:[1,1,0] neg_lo:[0,0,1] neg_hi:[0,0,1]
	v_pk_fma_f32 v[42:43], v[18:19], v[42:43], v[46:47] op_sel:[0,0,1] op_sel_hi:[0,1,0]
	v_mov_b32_e32 v18, v53
	v_mov_b32_e32 v49, v43
	v_pk_mul_f32 v[42:43], v[44:45], v[18:19] op_sel_hi:[1,0]
	v_mov_b32_e32 v18, v27
	v_pk_fma_f32 v[46:47], v[18:19], v[44:45], v[42:43] op_sel:[0,0,1] op_sel_hi:[1,1,0] neg_lo:[0,0,1] neg_hi:[0,0,1]
	v_pk_fma_f32 v[26:27], v[26:27], v[44:45], v[42:43] op_sel:[0,0,1] op_sel_hi:[0,1,0]
	v_mov_b32_e32 v47, v27
	v_pk_add_f32 v[26:27], v[48:49], v[46:47]
	v_pk_add_f32 v[42:43], v[48:49], v[46:47] neg_lo:[0,1] neg_hi:[0,1]
	v_pk_fma_f32 v[26:27], v[26:27], 0.5, v[28:29] op_sel_hi:[1,0,1] neg_lo:[1,0,0] neg_hi:[1,0,0]
	v_pk_mul_f32 v[42:43], v[42:43], s[0:1] op_sel_hi:[1,0]
	v_pk_add_f32 v[28:29], v[28:29], v[48:49]
	v_lshl_add_u64 v[0:1], v[0:1], 3, v[2:3]
	v_pk_add_f32 v[44:45], v[26:27], v[42:43] op_sel:[0,1] op_sel_hi:[1,0] neg_lo:[0,1] neg_hi:[0,1]
	v_pk_add_f32 v[26:27], v[26:27], v[42:43] op_sel:[0,1] op_sel_hi:[1,0]
	v_pk_add_f32 v[28:29], v[28:29], v[46:47]
	global_store_dwordx2 v[0:1], v[28:29], off
	v_mov_b32_e32 v0, v26
	v_mov_b32_e32 v1, v45
	;; [unrolled: 1-line block ×3, first 2 shown]
	global_load_dwordx4 v[26:29], v[32:33], off offset:3536
	v_lshl_add_u64 v[38:39], v[38:39], 3, v[2:3]
	global_store_dwordx2 v[38:39], v[0:1], off
	v_add_u32_e32 v0, 0xb6, v97
	v_mul_hi_u32 v1, v0, s1
	v_sub_u32_e32 v5, v0, v1
	v_lshrrev_b32_e32 v5, 1, v5
	v_add_u32_e32 v1, v5, v1
	v_lshrrev_b32_e32 v1, 8, v1
	v_mul_u32_u24_e32 v5, 0x1c7, v1
	v_sub_u32_e32 v0, v0, v5
	v_mad_u32_u24 v5, v1, s2, v0
	v_mad_u64_u32 v[0:1], s[4:5], s16, v5, 0
	v_mov_b32_e32 v18, v1
	v_mad_u64_u32 v[32:33], s[4:5], s17, v5, v[18:19]
	v_add_u32_e32 v7, 0x1c7, v5
	v_mov_b32_e32 v1, v32
	v_mad_u64_u32 v[32:33], s[4:5], s16, v7, 0
	v_mov_b32_e32 v18, v33
	v_mad_u64_u32 v[38:39], s[4:5], s17, v7, v[18:19]
	v_add_u32_e32 v5, 0x38e, v5
	v_mov_b32_e32 v33, v38
	v_mad_u64_u32 v[38:39], s[4:5], s16, v5, 0
	v_lshl_add_u64 v[40:41], v[40:41], 3, v[2:3]
	v_mov_b32_e32 v18, v39
	global_store_dwordx2 v[40:41], v[44:45], off
	v_mad_u64_u32 v[40:41], s[4:5], s17, v5, v[18:19]
	v_mov_b32_e32 v18, v31
	v_mov_b32_e32 v39, v40
	s_waitcnt vmcnt(6)
	v_pk_mul_f32 v[30:31], v[34:35], v[18:19] op_sel_hi:[1,0]
	v_mov_b32_e32 v18, v19
	v_mov_b32_e32 v40, v19
	v_pk_fma_f32 v[18:19], v[18:19], v[34:35], v[30:31] op_sel:[0,0,1] op_sel_hi:[1,1,0] neg_lo:[0,0,1] neg_hi:[0,0,1]
	v_pk_fma_f32 v[30:31], v[40:41], v[34:35], v[30:31] op_sel:[0,0,1] op_sel_hi:[0,1,0]
	v_mov_b32_e32 v19, v31
	v_pk_mul_f32 v[30:31], v[36:37], v[22:23] op_sel_hi:[1,0]
	v_lshl_add_u64 v[0:1], v[0:1], 3, v[2:3]
	v_pk_fma_f32 v[34:35], v[14:15], v[36:37], v[30:31] op_sel:[0,0,1] op_sel_hi:[1,1,0] neg_lo:[0,0,1] neg_hi:[0,0,1]
	v_pk_fma_f32 v[30:31], v[14:15], v[36:37], v[30:31] op_sel:[0,0,1] op_sel_hi:[0,1,0]
	v_mov_b32_e32 v35, v31
	v_pk_add_f32 v[30:31], v[18:19], v[34:35]
	v_mov_b32_e32 v36, v12
	v_mov_b32_e32 v37, v20
	v_pk_add_f32 v[40:41], v[18:19], v[34:35] neg_lo:[0,1] neg_hi:[0,1]
	v_pk_fma_f32 v[30:31], v[30:31], 0.5, v[36:37] op_sel_hi:[1,0,1] neg_lo:[1,0,0] neg_hi:[1,0,0]
	v_pk_mul_f32 v[40:41], v[40:41], s[0:1] op_sel_hi:[1,0]
	v_pk_add_f32 v[18:19], v[36:37], v[18:19]
	v_pk_add_f32 v[42:43], v[30:31], v[40:41] op_sel:[0,1] op_sel_hi:[1,0] neg_lo:[0,1] neg_hi:[0,1]
	v_pk_add_f32 v[30:31], v[30:31], v[40:41] op_sel:[0,1] op_sel_hi:[1,0]
	v_pk_add_f32 v[18:19], v[18:19], v[34:35]
	v_lshl_add_u64 v[32:33], v[32:33], 3, v[2:3]
	global_store_dwordx2 v[0:1], v[18:19], off
	v_mov_b32_e32 v0, v30
	v_mov_b32_e32 v1, v43
	global_store_dwordx2 v[32:33], v[0:1], off
	v_mov_b32_e32 v43, v31
	global_load_dwordx4 v[30:33], v[24:25], off offset:3536
	v_add_u32_e32 v0, 0x111, v97
	v_mul_hi_u32 v1, v0, s1
	v_sub_u32_e32 v5, v0, v1
	v_lshrrev_b32_e32 v5, 1, v5
	v_add_u32_e32 v1, v5, v1
	v_lshrrev_b32_e32 v1, 8, v1
	v_mul_u32_u24_e32 v5, 0x1c7, v1
	v_sub_u32_e32 v0, v0, v5
	v_mad_u32_u24 v5, v1, s2, v0
	v_mad_u64_u32 v[0:1], s[4:5], s16, v5, 0
	v_mov_b32_e32 v12, v1
	v_mad_u64_u32 v[18:19], s[4:5], s17, v5, v[12:13]
	v_add_u32_e32 v7, 0x1c7, v5
	v_mov_b32_e32 v1, v18
	v_mad_u64_u32 v[18:19], s[4:5], s16, v7, 0
	v_mov_b32_e32 v12, v19
	v_mad_u64_u32 v[24:25], s[4:5], s17, v7, v[12:13]
	v_add_u32_e32 v5, 0x38e, v5
	v_mov_b32_e32 v19, v24
	v_mad_u64_u32 v[24:25], s[4:5], s16, v5, 0
	v_mov_b32_e32 v12, v25
	v_mad_u64_u32 v[34:35], s[4:5], s17, v5, v[12:13]
	v_mov_b32_e32 v25, v34
	s_waitcnt vmcnt(5)
	v_pk_mul_f32 v[34:35], v[26:27], v[16:17] op_sel_hi:[1,0]
	v_mov_b32_e32 v12, v15
	v_pk_fma_f32 v[36:37], v[10:11], v[26:27], v[34:35] op_sel:[0,0,1] op_sel_hi:[1,1,0] neg_lo:[0,0,1] neg_hi:[0,0,1]
	v_pk_fma_f32 v[26:27], v[10:11], v[26:27], v[34:35] op_sel:[0,0,1] op_sel_hi:[0,1,0]
	v_mov_b32_e32 v10, v23
	v_pk_mul_f32 v[22:23], v[28:29], v[10:11] op_sel_hi:[1,0]
	v_mov_b32_e32 v10, v15
	v_pk_fma_f32 v[14:15], v[10:11], v[28:29], v[22:23] op_sel:[0,0,1] op_sel_hi:[1,1,0] neg_lo:[0,0,1] neg_hi:[0,0,1]
	v_pk_fma_f32 v[22:23], v[12:13], v[28:29], v[22:23] op_sel:[0,0,1] op_sel_hi:[0,1,0]
	v_mov_b32_e32 v37, v27
	v_mov_b32_e32 v15, v23
	v_pk_add_f32 v[22:23], v[36:37], v[14:15]
	v_mov_b32_e32 v20, v13
	v_pk_fma_f32 v[12:13], v[22:23], 0.5, v[20:21] op_sel_hi:[1,0,1] neg_lo:[1,0,0] neg_hi:[1,0,0]
	v_pk_add_f32 v[22:23], v[36:37], v[14:15] neg_lo:[0,1] neg_hi:[0,1]
	v_pk_add_f32 v[20:21], v[20:21], v[36:37]
	v_pk_mul_f32 v[22:23], v[22:23], s[0:1] op_sel_hi:[1,0]
	v_lshl_add_u64 v[38:39], v[38:39], 3, v[2:3]
	v_lshl_add_u64 v[0:1], v[0:1], 3, v[2:3]
	v_pk_add_f32 v[26:27], v[12:13], v[22:23] op_sel:[0,1] op_sel_hi:[1,0] neg_lo:[0,1] neg_hi:[0,1]
	v_pk_add_f32 v[12:13], v[12:13], v[22:23] op_sel:[0,1] op_sel_hi:[1,0]
	v_pk_add_f32 v[14:15], v[20:21], v[14:15]
	global_store_dwordx2 v[38:39], v[42:43], off
	v_lshl_add_u64 v[18:19], v[18:19], 3, v[2:3]
	global_store_dwordx2 v[0:1], v[14:15], off
	v_mov_b32_e32 v0, v12
	v_mov_b32_e32 v1, v27
	global_store_dwordx2 v[18:19], v[0:1], off
	v_add_u32_e32 v0, 0x16c, v97
	v_mul_hi_u32 v1, v0, s1
	v_sub_u32_e32 v5, v0, v1
	v_lshrrev_b32_e32 v5, 1, v5
	v_add_u32_e32 v1, v5, v1
	v_lshrrev_b32_e32 v1, 8, v1
	v_mul_u32_u24_e32 v5, 0x1c7, v1
	v_sub_u32_e32 v0, v0, v5
	v_mad_u32_u24 v5, v1, s2, v0
	v_mad_u64_u32 v[0:1], s[2:3], s16, v5, 0
	v_mov_b32_e32 v10, v1
	v_mov_b32_e32 v27, v13
	v_mad_u64_u32 v[12:13], s[2:3], s17, v5, v[10:11]
	v_add_u32_e32 v7, 0x1c7, v5
	v_mov_b32_e32 v1, v12
	v_mad_u64_u32 v[12:13], s[2:3], s16, v7, 0
	v_mov_b32_e32 v10, v13
	v_mad_u64_u32 v[14:15], s[2:3], s17, v7, v[10:11]
	v_add_u32_e32 v5, 0x38e, v5
	v_mov_b32_e32 v13, v14
	v_mad_u64_u32 v[14:15], s[2:3], s16, v5, 0
	v_mov_b32_e32 v10, v15
	v_mad_u64_u32 v[18:19], s[2:3], s17, v5, v[10:11]
	v_mov_b32_e32 v15, v18
	v_mov_b32_e32 v10, v17
	v_lshl_add_u64 v[24:25], v[24:25], 3, v[2:3]
	v_lshl_add_u64 v[0:1], v[0:1], 3, v[2:3]
	;; [unrolled: 1-line block ×4, first 2 shown]
	s_waitcnt vmcnt(3)
	v_pk_mul_f32 v[14:15], v[30:31], v[10:11] op_sel_hi:[1,0]
	v_mov_b32_e32 v10, v11
	v_mov_b32_e32 v16, v11
	v_pk_fma_f32 v[10:11], v[10:11], v[30:31], v[14:15] op_sel:[0,0,1] op_sel_hi:[1,1,0] neg_lo:[0,0,1] neg_hi:[0,0,1]
	v_pk_fma_f32 v[14:15], v[16:17], v[30:31], v[14:15] op_sel:[0,0,1] op_sel_hi:[0,1,0]
	v_pk_mul_f32 v[4:5], v[32:33], v[4:5] op_sel_hi:[1,0]
	v_mov_b32_e32 v11, v15
	v_pk_fma_f32 v[14:15], v[8:9], v[32:33], v[4:5] op_sel:[0,0,1] op_sel_hi:[1,1,0] neg_lo:[0,0,1] neg_hi:[0,0,1]
	v_pk_fma_f32 v[4:5], v[8:9], v[32:33], v[4:5] op_sel:[0,0,1] op_sel_hi:[0,1,0]
	v_mov_b32_e32 v15, v5
	v_pk_add_f32 v[4:5], v[10:11], v[14:15]
	v_mov_b32_e32 v7, v50
	v_pk_add_f32 v[8:9], v[10:11], v[14:15] neg_lo:[0,1] neg_hi:[0,1]
	v_pk_fma_f32 v[4:5], v[4:5], 0.5, v[6:7] op_sel_hi:[1,0,1] neg_lo:[1,0,0] neg_hi:[1,0,0]
	v_pk_mul_f32 v[8:9], v[8:9], s[0:1] op_sel_hi:[1,0]
	v_pk_add_f32 v[6:7], v[6:7], v[10:11]
	v_pk_add_f32 v[16:17], v[4:5], v[8:9] op_sel:[0,1] op_sel_hi:[1,0] neg_lo:[0,1] neg_hi:[0,1]
	v_pk_add_f32 v[4:5], v[4:5], v[8:9] op_sel:[0,1] op_sel_hi:[1,0]
	v_pk_add_f32 v[6:7], v[6:7], v[14:15]
	global_store_dwordx2 v[24:25], v[26:27], off
	global_store_dwordx2 v[0:1], v[6:7], off
	v_mov_b32_e32 v0, v4
	v_mov_b32_e32 v1, v17
	;; [unrolled: 1-line block ×3, first 2 shown]
	global_store_dwordx2 v[12:13], v[0:1], off
	global_store_dwordx2 v[2:3], v[16:17], off
.LBB0_29:
	s_endpgm
	.section	.rodata,"a",@progbits
	.p2align	6, 0x0
	.amdhsa_kernel fft_rtc_fwd_len1365_factors_13_7_5_3_wgs_182_tpt_91_halfLds_sp_op_CI_CI_sbrr_dirReg
		.amdhsa_group_segment_fixed_size 0
		.amdhsa_private_segment_fixed_size 0
		.amdhsa_kernarg_size 104
		.amdhsa_user_sgpr_count 2
		.amdhsa_user_sgpr_dispatch_ptr 0
		.amdhsa_user_sgpr_queue_ptr 0
		.amdhsa_user_sgpr_kernarg_segment_ptr 1
		.amdhsa_user_sgpr_dispatch_id 0
		.amdhsa_user_sgpr_kernarg_preload_length 0
		.amdhsa_user_sgpr_kernarg_preload_offset 0
		.amdhsa_user_sgpr_private_segment_size 0
		.amdhsa_uses_dynamic_stack 0
		.amdhsa_enable_private_segment 0
		.amdhsa_system_sgpr_workgroup_id_x 1
		.amdhsa_system_sgpr_workgroup_id_y 0
		.amdhsa_system_sgpr_workgroup_id_z 0
		.amdhsa_system_sgpr_workgroup_info 0
		.amdhsa_system_vgpr_workitem_id 0
		.amdhsa_next_free_vgpr 162
		.amdhsa_next_free_sgpr 70
		.amdhsa_accum_offset 164
		.amdhsa_reserve_vcc 1
		.amdhsa_float_round_mode_32 0
		.amdhsa_float_round_mode_16_64 0
		.amdhsa_float_denorm_mode_32 3
		.amdhsa_float_denorm_mode_16_64 3
		.amdhsa_dx10_clamp 1
		.amdhsa_ieee_mode 1
		.amdhsa_fp16_overflow 0
		.amdhsa_tg_split 0
		.amdhsa_exception_fp_ieee_invalid_op 0
		.amdhsa_exception_fp_denorm_src 0
		.amdhsa_exception_fp_ieee_div_zero 0
		.amdhsa_exception_fp_ieee_overflow 0
		.amdhsa_exception_fp_ieee_underflow 0
		.amdhsa_exception_fp_ieee_inexact 0
		.amdhsa_exception_int_div_zero 0
	.end_amdhsa_kernel
	.text
.Lfunc_end0:
	.size	fft_rtc_fwd_len1365_factors_13_7_5_3_wgs_182_tpt_91_halfLds_sp_op_CI_CI_sbrr_dirReg, .Lfunc_end0-fft_rtc_fwd_len1365_factors_13_7_5_3_wgs_182_tpt_91_halfLds_sp_op_CI_CI_sbrr_dirReg
                                        ; -- End function
	.section	.AMDGPU.csdata,"",@progbits
; Kernel info:
; codeLenInByte = 15084
; NumSgprs: 76
; NumVgprs: 162
; NumAgprs: 0
; TotalNumVgprs: 162
; ScratchSize: 0
; MemoryBound: 0
; FloatMode: 240
; IeeeMode: 1
; LDSByteSize: 0 bytes/workgroup (compile time only)
; SGPRBlocks: 9
; VGPRBlocks: 20
; NumSGPRsForWavesPerEU: 76
; NumVGPRsForWavesPerEU: 162
; AccumOffset: 164
; Occupancy: 3
; WaveLimiterHint : 1
; COMPUTE_PGM_RSRC2:SCRATCH_EN: 0
; COMPUTE_PGM_RSRC2:USER_SGPR: 2
; COMPUTE_PGM_RSRC2:TRAP_HANDLER: 0
; COMPUTE_PGM_RSRC2:TGID_X_EN: 1
; COMPUTE_PGM_RSRC2:TGID_Y_EN: 0
; COMPUTE_PGM_RSRC2:TGID_Z_EN: 0
; COMPUTE_PGM_RSRC2:TIDIG_COMP_CNT: 0
; COMPUTE_PGM_RSRC3_GFX90A:ACCUM_OFFSET: 40
; COMPUTE_PGM_RSRC3_GFX90A:TG_SPLIT: 0
	.text
	.p2alignl 6, 3212836864
	.fill 256, 4, 3212836864
	.type	__hip_cuid_8edededed35d6227,@object ; @__hip_cuid_8edededed35d6227
	.section	.bss,"aw",@nobits
	.globl	__hip_cuid_8edededed35d6227
__hip_cuid_8edededed35d6227:
	.byte	0                               ; 0x0
	.size	__hip_cuid_8edededed35d6227, 1

	.ident	"AMD clang version 19.0.0git (https://github.com/RadeonOpenCompute/llvm-project roc-6.4.0 25133 c7fe45cf4b819c5991fe208aaa96edf142730f1d)"
	.section	".note.GNU-stack","",@progbits
	.addrsig
	.addrsig_sym __hip_cuid_8edededed35d6227
	.amdgpu_metadata
---
amdhsa.kernels:
  - .agpr_count:     0
    .args:
      - .actual_access:  read_only
        .address_space:  global
        .offset:         0
        .size:           8
        .value_kind:     global_buffer
      - .offset:         8
        .size:           8
        .value_kind:     by_value
      - .actual_access:  read_only
        .address_space:  global
        .offset:         16
        .size:           8
        .value_kind:     global_buffer
      - .actual_access:  read_only
        .address_space:  global
        .offset:         24
        .size:           8
        .value_kind:     global_buffer
      - .actual_access:  read_only
        .address_space:  global
        .offset:         32
        .size:           8
        .value_kind:     global_buffer
      - .offset:         40
        .size:           8
        .value_kind:     by_value
      - .actual_access:  read_only
        .address_space:  global
        .offset:         48
        .size:           8
        .value_kind:     global_buffer
      - .actual_access:  read_only
        .address_space:  global
        .offset:         56
        .size:           8
        .value_kind:     global_buffer
      - .offset:         64
        .size:           4
        .value_kind:     by_value
      - .actual_access:  read_only
        .address_space:  global
        .offset:         72
        .size:           8
        .value_kind:     global_buffer
      - .actual_access:  read_only
        .address_space:  global
        .offset:         80
        .size:           8
        .value_kind:     global_buffer
      - .actual_access:  read_only
        .address_space:  global
        .offset:         88
        .size:           8
        .value_kind:     global_buffer
      - .actual_access:  write_only
        .address_space:  global
        .offset:         96
        .size:           8
        .value_kind:     global_buffer
    .group_segment_fixed_size: 0
    .kernarg_segment_align: 8
    .kernarg_segment_size: 104
    .language:       OpenCL C
    .language_version:
      - 2
      - 0
    .max_flat_workgroup_size: 182
    .name:           fft_rtc_fwd_len1365_factors_13_7_5_3_wgs_182_tpt_91_halfLds_sp_op_CI_CI_sbrr_dirReg
    .private_segment_fixed_size: 0
    .sgpr_count:     76
    .sgpr_spill_count: 0
    .symbol:         fft_rtc_fwd_len1365_factors_13_7_5_3_wgs_182_tpt_91_halfLds_sp_op_CI_CI_sbrr_dirReg.kd
    .uniform_work_group_size: 1
    .uses_dynamic_stack: false
    .vgpr_count:     162
    .vgpr_spill_count: 0
    .wavefront_size: 64
amdhsa.target:   amdgcn-amd-amdhsa--gfx950
amdhsa.version:
  - 1
  - 2
...

	.end_amdgpu_metadata
